;; amdgpu-corpus repo=ROCm/rocFFT kind=compiled arch=gfx906 opt=O3
	.text
	.amdgcn_target "amdgcn-amd-amdhsa--gfx906"
	.amdhsa_code_object_version 6
	.protected	bluestein_single_fwd_len90_dim1_half_op_CI_CI ; -- Begin function bluestein_single_fwd_len90_dim1_half_op_CI_CI
	.globl	bluestein_single_fwd_len90_dim1_half_op_CI_CI
	.p2align	8
	.type	bluestein_single_fwd_len90_dim1_half_op_CI_CI,@function
bluestein_single_fwd_len90_dim1_half_op_CI_CI: ; @bluestein_single_fwd_len90_dim1_half_op_CI_CI
; %bb.0:
	v_mul_u32_u24_e32 v1, 0x1c72, v0
	s_load_dwordx4 s[12:15], s[4:5], 0x28
	v_lshrrev_b32_e32 v1, 16, v1
	v_mad_u64_u32 v[10:11], s[0:1], s6, 7, v[1:2]
	v_mov_b32_e32 v11, 0
	s_waitcnt lgkmcnt(0)
	v_cmp_gt_u64_e32 vcc, s[12:13], v[10:11]
	s_and_saveexec_b64 s[0:1], vcc
	s_cbranch_execz .LBB0_23
; %bb.1:
	s_load_dwordx4 s[0:3], s[4:5], 0x18
	s_load_dwordx2 s[12:13], s[4:5], 0x0
	v_mul_lo_u16_e32 v1, 9, v1
	v_sub_u16_e32 v40, v0, v1
	v_lshlrev_b32_e32 v11, 2, v40
	s_waitcnt lgkmcnt(0)
	s_load_dwordx4 s[8:11], s[0:1], 0x0
	global_load_dword v42, v11, s[12:13]
	global_load_dword v41, v11, s[12:13] offset:120
	v_or_b32_e32 v33, 48, v40
	v_mov_b32_e32 v9, s13
	s_waitcnt lgkmcnt(0)
	v_mad_u64_u32 v[0:1], s[0:1], s10, v10, 0
	v_mad_u64_u32 v[2:3], s[0:1], s8, v40, 0
	v_mad_u64_u32 v[4:5], s[0:1], s11, v10, v[1:2]
	v_mad_u64_u32 v[5:6], s[0:1], s9, v40, v[3:4]
	v_mov_b32_e32 v1, v4
	v_lshlrev_b64 v[0:1], 2, v[0:1]
	v_mov_b32_e32 v6, s15
	v_mov_b32_e32 v3, v5
	v_add_co_u32_e32 v5, vcc, s14, v0
	v_addc_co_u32_e32 v6, vcc, v6, v1, vcc
	v_lshlrev_b64 v[0:1], 2, v[2:3]
	s_mul_i32 s0, s9, 30
	s_mul_hi_u32 s1, s8, 30
	v_add_co_u32_e32 v0, vcc, v5, v0
	s_add_i32 s1, s1, s0
	s_mul_i32 s0, s8, 30
	v_addc_co_u32_e32 v1, vcc, v6, v1, vcc
	s_lshl_b64 s[14:15], s[0:1], 2
	global_load_dword v7, v[0:1], off
	v_mov_b32_e32 v4, s15
	v_add_co_u32_e32 v0, vcc, s14, v0
	v_addc_co_u32_e32 v1, vcc, v1, v4, vcc
	v_add_co_u32_e32 v2, vcc, s14, v0
	v_addc_co_u32_e32 v3, vcc, v1, v4, vcc
	global_load_dword v12, v[0:1], off
	global_load_dword v13, v[2:3], off
	global_load_dword v39, v11, s[12:13] offset:240
	s_mul_hi_u32 s1, s8, 0xffffffcd
	s_mul_i32 s0, s9, 0xffffffcd
	s_sub_i32 s1, s1, s8
	s_add_i32 s1, s1, s0
	s_mul_i32 s0, s8, 0xffffffcd
	s_lshl_b64 s[0:1], s[0:1], 2
	v_mov_b32_e32 v8, s1
	v_add_co_u32_e32 v0, vcc, s0, v2
	v_addc_co_u32_e32 v1, vcc, v3, v8, vcc
	v_add_co_u32_e32 v2, vcc, s14, v0
	global_load_dword v38, v11, s[12:13] offset:36
	v_addc_co_u32_e32 v3, vcc, v1, v4, vcc
	global_load_dword v14, v[0:1], off
	global_load_dword v15, v[2:3], off
	global_load_dword v37, v11, s[12:13] offset:156
	v_add_co_u32_e32 v0, vcc, s14, v2
	v_addc_co_u32_e32 v1, vcc, v3, v4, vcc
	v_mad_u64_u32 v[2:3], s[6:7], s8, v33, 0
	global_load_dword v16, v[0:1], off
	global_load_dword v36, v11, s[12:13] offset:276
	v_add_co_u32_e32 v0, vcc, s0, v0
	v_mad_u64_u32 v[3:4], s[6:7], s9, v33, v[3:4]
	v_addc_co_u32_e32 v1, vcc, v1, v8, vcc
	global_load_dword v4, v[0:1], off
	global_load_dword v34, v11, s[12:13] offset:192
	global_load_dword v35, v11, s[12:13] offset:72
	v_lshlrev_b64 v[2:3], 2, v[2:3]
	v_add_co_u32_e32 v2, vcc, v5, v2
	v_addc_co_u32_e32 v3, vcc, v6, v3, vcc
	global_load_dword v2, v[2:3], off
	v_mov_b32_e32 v3, 0xf0
	v_mad_u64_u32 v[0:1], s[6:7], s8, v3, v[0:1]
	s_mul_i32 s6, s9, 0xf0
	v_add_co_u32_e32 v8, vcc, s12, v11
	v_add_u32_e32 v1, s6, v1
	global_load_dword v3, v[0:1], off
	global_load_dword v32, v11, s[12:13] offset:312
	s_mov_b32 s6, 0x24924925
	v_mul_hi_u32 v5, v10, s6
	s_load_dwordx2 s[6:7], s[4:5], 0x38
	s_load_dwordx4 s[8:11], s[2:3], 0x0
	v_addc_co_u32_e32 v9, vcc, 0, v9, vcc
	v_sub_u32_e32 v6, v10, v5
	v_lshrrev_b32_e32 v6, 1, v6
	v_add_u32_e32 v5, v6, v5
	v_lshrrev_b32_e32 v5, 2, v5
	v_mul_lo_u32 v5, v5, 7
	v_cmp_gt_u16_e32 vcc, 3, v40
	v_sub_u32_e32 v5, v10, v5
	v_mul_u32_u24_e32 v5, 0x5a, v5
	v_lshlrev_b32_e32 v43, 2, v5
	v_add_u32_e32 v31, v11, v43
	s_waitcnt vmcnt(15)
	v_lshrrev_b32_e32 v6, 16, v7
	v_mul_f16_sdwa v5, v42, v7 dst_sel:DWORD dst_unused:UNUSED_PAD src0_sel:WORD_1 src1_sel:DWORD
	v_mul_f16_sdwa v17, v42, v6 dst_sel:DWORD dst_unused:UNUSED_PAD src0_sel:WORD_1 src1_sel:DWORD
	v_fma_f16 v5, v42, v6, -v5
	v_fma_f16 v17, v42, v7, v17
	v_pack_b32_f16 v5, v17, v5
	s_waitcnt vmcnt(14)
	v_lshrrev_b32_e32 v6, 16, v12
	v_mul_f16_sdwa v7, v41, v6 dst_sel:DWORD dst_unused:UNUSED_PAD src0_sel:WORD_1 src1_sel:DWORD
	v_mul_f16_sdwa v11, v41, v12 dst_sel:DWORD dst_unused:UNUSED_PAD src0_sel:WORD_1 src1_sel:DWORD
	v_fma_f16 v7, v41, v12, v7
	v_fma_f16 v6, v41, v6, -v11
	v_pack_b32_f16 v6, v7, v6
	ds_write_b32 v31, v6 offset:120
	s_waitcnt vmcnt(13)
	v_lshrrev_b32_e32 v6, 16, v13
	s_waitcnt vmcnt(12)
	v_mul_f16_sdwa v7, v39, v6 dst_sel:DWORD dst_unused:UNUSED_PAD src0_sel:WORD_1 src1_sel:DWORD
	v_mul_f16_sdwa v11, v39, v13 dst_sel:DWORD dst_unused:UNUSED_PAD src0_sel:WORD_1 src1_sel:DWORD
	v_fma_f16 v7, v39, v13, v7
	v_fma_f16 v6, v39, v6, -v11
	v_pack_b32_f16 v6, v7, v6
	ds_write_b32 v31, v6 offset:240
	s_waitcnt vmcnt(10)
	v_lshrrev_b32_e32 v6, 16, v14
	v_mul_f16_sdwa v7, v38, v6 dst_sel:DWORD dst_unused:UNUSED_PAD src0_sel:WORD_1 src1_sel:DWORD
	v_mul_f16_sdwa v11, v38, v14 dst_sel:DWORD dst_unused:UNUSED_PAD src0_sel:WORD_1 src1_sel:DWORD
	v_fma_f16 v7, v38, v14, v7
	v_fma_f16 v6, v38, v6, -v11
	v_pack_b32_f16 v6, v7, v6
	ds_write2_b32 v31, v5, v6 offset1:9
	s_waitcnt vmcnt(9)
	v_lshrrev_b32_e32 v5, 16, v15
	s_waitcnt vmcnt(8)
	v_mul_f16_sdwa v6, v37, v5 dst_sel:DWORD dst_unused:UNUSED_PAD src0_sel:WORD_1 src1_sel:DWORD
	v_mul_f16_sdwa v7, v37, v15 dst_sel:DWORD dst_unused:UNUSED_PAD src0_sel:WORD_1 src1_sel:DWORD
	v_fma_f16 v6, v37, v15, v6
	v_fma_f16 v5, v37, v5, -v7
	v_pack_b32_f16 v5, v6, v5
	s_waitcnt vmcnt(7)
	v_lshrrev_b32_e32 v6, 16, v16
	s_waitcnt vmcnt(6)
	v_mul_f16_sdwa v7, v36, v6 dst_sel:DWORD dst_unused:UNUSED_PAD src0_sel:WORD_1 src1_sel:DWORD
	v_mul_f16_sdwa v11, v36, v16 dst_sel:DWORD dst_unused:UNUSED_PAD src0_sel:WORD_1 src1_sel:DWORD
	v_fma_f16 v7, v36, v16, v7
	v_fma_f16 v6, v36, v6, -v11
	v_pack_b32_f16 v6, v7, v6
	s_waitcnt vmcnt(5)
	v_lshrrev_b32_e32 v7, 16, v4
	s_waitcnt vmcnt(3)
	v_mul_f16_sdwa v11, v35, v7 dst_sel:DWORD dst_unused:UNUSED_PAD src0_sel:WORD_1 src1_sel:DWORD
	v_fma_f16 v11, v35, v4, v11
	v_mul_f16_sdwa v4, v35, v4 dst_sel:DWORD dst_unused:UNUSED_PAD src0_sel:WORD_1 src1_sel:DWORD
	v_fma_f16 v4, v35, v7, -v4
	v_pack_b32_f16 v4, v11, v4
	ds_write_b32 v31, v4 offset:72
	s_waitcnt vmcnt(2)
	v_lshrrev_b32_e32 v4, 16, v2
	v_mul_f16_sdwa v7, v34, v4 dst_sel:DWORD dst_unused:UNUSED_PAD src0_sel:WORD_1 src1_sel:DWORD
	v_fma_f16 v7, v34, v2, v7
	v_mul_f16_sdwa v2, v34, v2 dst_sel:DWORD dst_unused:UNUSED_PAD src0_sel:WORD_1 src1_sel:DWORD
	v_fma_f16 v2, v34, v4, -v2
	v_pack_b32_f16 v2, v7, v2
	ds_write2_b32 v31, v5, v2 offset0:39 offset1:48
	s_waitcnt vmcnt(1)
	v_lshrrev_b32_e32 v2, 16, v3
	s_waitcnt vmcnt(0)
	v_mul_f16_sdwa v4, v32, v2 dst_sel:DWORD dst_unused:UNUSED_PAD src0_sel:WORD_1 src1_sel:DWORD
	v_fma_f16 v4, v32, v3, v4
	v_mul_f16_sdwa v3, v32, v3 dst_sel:DWORD dst_unused:UNUSED_PAD src0_sel:WORD_1 src1_sel:DWORD
	v_fma_f16 v2, v32, v2, -v3
	v_pack_b32_f16 v2, v4, v2
	ds_write2_b32 v31, v6, v2 offset0:69 offset1:78
	s_and_saveexec_b64 s[2:3], vcc
	s_cbranch_execz .LBB0_3
; %bb.2:
	v_mov_b32_e32 v2, s1
	v_add_co_u32_e64 v0, s[0:1], s0, v0
	v_addc_co_u32_e64 v1, s[0:1], v1, v2, s[0:1]
	global_load_dword v2, v[0:1], off
	global_load_dword v3, v[8:9], off offset:108
	v_mov_b32_e32 v4, s15
	v_add_co_u32_e64 v0, s[0:1], s14, v0
	v_addc_co_u32_e64 v1, s[0:1], v1, v4, s[0:1]
	global_load_dword v5, v[0:1], off
	global_load_dword v6, v[8:9], off offset:228
	v_add_co_u32_e64 v0, s[0:1], s14, v0
	v_addc_co_u32_e64 v1, s[0:1], v1, v4, s[0:1]
	global_load_dword v4, v[0:1], off
	global_load_dword v7, v[8:9], off offset:348
	s_waitcnt vmcnt(5)
	v_lshrrev_b32_e32 v0, 16, v2
	s_waitcnt vmcnt(4)
	v_mul_f16_sdwa v1, v3, v2 dst_sel:DWORD dst_unused:UNUSED_PAD src0_sel:WORD_1 src1_sel:DWORD
	v_mul_f16_sdwa v11, v3, v0 dst_sel:DWORD dst_unused:UNUSED_PAD src0_sel:WORD_1 src1_sel:DWORD
	v_fma_f16 v0, v3, v0, -v1
	v_fma_f16 v2, v3, v2, v11
	v_pack_b32_f16 v0, v2, v0
	s_waitcnt vmcnt(3)
	v_lshrrev_b32_e32 v1, 16, v5
	s_waitcnt vmcnt(2)
	v_mul_f16_sdwa v12, v6, v5 dst_sel:DWORD dst_unused:UNUSED_PAD src0_sel:WORD_1 src1_sel:DWORD
	v_mul_f16_sdwa v3, v6, v1 dst_sel:DWORD dst_unused:UNUSED_PAD src0_sel:WORD_1 src1_sel:DWORD
	v_fma_f16 v1, v6, v1, -v12
	v_fma_f16 v2, v6, v5, v3
	s_waitcnt vmcnt(1)
	v_lshrrev_b32_e32 v11, 16, v4
	s_waitcnt vmcnt(0)
	v_mul_f16_sdwa v12, v7, v4 dst_sel:DWORD dst_unused:UNUSED_PAD src0_sel:WORD_1 src1_sel:DWORD
	v_mul_f16_sdwa v3, v7, v11 dst_sel:DWORD dst_unused:UNUSED_PAD src0_sel:WORD_1 src1_sel:DWORD
	v_fma_f16 v5, v7, v11, -v12
	v_pack_b32_f16 v1, v2, v1
	v_fma_f16 v2, v7, v4, v3
	ds_write2_b32 v31, v0, v1 offset0:27 offset1:57
	v_pack_b32_f16 v0, v2, v5
	ds_write_b32 v31, v0 offset:348
.LBB0_3:
	s_or_b64 exec, exec, s[2:3]
	s_waitcnt lgkmcnt(0)
	; wave barrier
	s_waitcnt lgkmcnt(0)
	ds_read2_b32 v[5:6], v31 offset1:9
	ds_read2_b32 v[1:2], v31 offset0:18 offset1:30
	ds_read2_b32 v[11:12], v31 offset0:60 offset1:69
	;; [unrolled: 1-line block ×3, first 2 shown]
	ds_read_b32 v7, v31 offset:312
                                        ; implicit-def: $vgpr13
                                        ; implicit-def: $vgpr17
	s_and_saveexec_b64 s[0:1], vcc
	s_cbranch_execz .LBB0_5
; %bb.4:
	ds_read2_b32 v[13:14], v31 offset0:27 offset1:57
	ds_read_b32 v17, v31 offset:348
.LBB0_5:
	s_or_b64 exec, exec, s[0:1]
	v_add_co_u32_e64 v16, s[0:1], 9, v40
	v_add_co_u32_e64 v15, s[0:1], 18, v40
	;; [unrolled: 1-line block ×3, first 2 shown]
	s_waitcnt lgkmcnt(1)
	v_pk_add_f16 v0, v13, v14
	s_waitcnt lgkmcnt(0)
	v_pk_add_f16 v21, v14, v17
	v_pk_add_f16 v14, v14, v17 neg_lo:[0,1] neg_hi:[0,1]
	s_movk_i32 s0, 0x3aee
	v_pk_fma_f16 v13, v21, 0.5, v13 op_sel_hi:[1,0,1] neg_lo:[1,0,0] neg_hi:[1,0,0]
	v_pk_mul_f16 v14, v14, s0 op_sel_hi:[1,0]
	v_pk_add_f16 v18, v5, v2
	v_pk_add_f16 v21, v13, v14 op_sel:[0,1] op_sel_hi:[1,0] neg_lo:[0,1] neg_hi:[0,1]
	v_pk_add_f16 v22, v13, v14 op_sel:[0,1] op_sel_hi:[1,0]
	v_pk_add_f16 v14, v2, v11
	v_pk_add_f16 v2, v2, v11 neg_lo:[0,1] neg_hi:[0,1]
	v_mul_lo_u16_e32 v13, 3, v40
	v_pk_fma_f16 v5, v14, 0.5, v5 op_sel_hi:[1,0,1] neg_lo:[1,0,0] neg_hi:[1,0,0]
	v_pk_mul_f16 v2, v2, s0 op_sel_hi:[1,0]
	s_load_dwordx2 s[2:3], s[4:5], 0x8
	v_lshl_add_u32 v45, v13, 2, v43
	v_pk_add_f16 v13, v18, v11
	v_pk_add_f16 v11, v5, v2 op_sel:[0,1] op_sel_hi:[1,0]
	v_pk_add_f16 v2, v5, v2 op_sel:[0,1] op_sel_hi:[1,0] neg_lo:[0,1] neg_hi:[0,1]
	s_mov_b32 s4, 0xffff
	v_bfi_b32 v5, s4, v11, v2
	v_pk_add_f16 v19, v6, v3
	s_waitcnt lgkmcnt(0)
	; wave barrier
	s_waitcnt lgkmcnt(0)
	ds_write2_b32 v45, v13, v5 offset1:1
	v_pk_add_f16 v5, v3, v12
	v_pk_add_f16 v3, v3, v12 neg_lo:[0,1] neg_hi:[0,1]
	v_bfi_b32 v2, s4, v2, v11
	v_pk_fma_f16 v5, v5, 0.5, v6 op_sel_hi:[1,0,1] neg_lo:[1,0,0] neg_hi:[1,0,0]
	v_pk_mul_f16 v3, v3, s0 op_sel_hi:[1,0]
	ds_write_b32 v45, v2 offset:8
	v_mul_u32_u24_e32 v2, 3, v16
	v_pk_add_f16 v6, v5, v3 op_sel:[0,1] op_sel_hi:[1,0]
	v_pk_add_f16 v3, v5, v3 op_sel:[0,1] op_sel_hi:[1,0] neg_lo:[0,1] neg_hi:[0,1]
	v_lshl_add_u32 v46, v2, 2, v43
	v_pk_add_f16 v2, v19, v12
	v_bfi_b32 v5, s4, v6, v3
	ds_write2_b32 v46, v2, v5 offset1:1
	v_bfi_b32 v2, s4, v3, v6
	v_pk_add_f16 v3, v4, v7
	v_pk_add_f16 v20, v1, v4
	v_pk_fma_f16 v1, v3, 0.5, v1 op_sel_hi:[1,0,1] neg_lo:[1,0,0] neg_hi:[1,0,0]
	v_pk_add_f16 v3, v4, v7 neg_lo:[0,1] neg_hi:[0,1]
	v_pk_mul_f16 v3, v3, s0 op_sel_hi:[1,0]
	ds_write_b32 v46, v2 offset:8
	v_mul_u32_u24_e32 v2, 3, v15
	v_pk_add_f16 v4, v1, v3 op_sel:[0,1] op_sel_hi:[1,0]
	v_pk_add_f16 v1, v1, v3 op_sel:[0,1] op_sel_hi:[1,0] neg_lo:[0,1] neg_hi:[0,1]
	v_pk_add_f16 v0, v0, v17
	v_lshl_add_u32 v47, v2, 2, v43
	v_pk_add_f16 v2, v20, v7
	v_bfi_b32 v3, s4, v4, v1
	v_bfi_b32 v1, s4, v1, v4
	v_mul_u32_u24_e32 v48, 3, v25
	ds_write2_b32 v47, v2, v3 offset1:1
	ds_write_b32 v47, v1 offset:8
	s_and_saveexec_b64 s[0:1], vcc
	s_cbranch_execz .LBB0_7
; %bb.6:
	v_lshl_add_u32 v1, v48, 2, v43
	v_bfi_b32 v2, s4, v21, v22
	v_bfi_b32 v3, s4, v22, v21
	ds_write_b32 v1, v0
	ds_write2_b32 v1, v3, v2 offset0:1 offset1:2
.LBB0_7:
	s_or_b64 exec, exec, s[0:1]
	s_waitcnt lgkmcnt(0)
	; wave barrier
	s_waitcnt lgkmcnt(0)
	ds_read2_b32 v[4:5], v31 offset1:9
	ds_read2_b32 v[2:3], v31 offset0:18 offset1:30
	ds_read2_b32 v[6:7], v31 offset0:60 offset1:69
	ds_read2_b32 v[19:20], v31 offset0:39 offset1:48
	ds_read_b32 v23, v31 offset:312
	v_lshrrev_b32_e32 v24, 16, v21
	s_and_saveexec_b64 s[0:1], vcc
	s_cbranch_execz .LBB0_9
; %bb.8:
	ds_read2_b32 v[0:1], v31 offset0:27 offset1:57
	ds_read_b32 v21, v31 offset:348
	s_waitcnt lgkmcnt(1)
	v_lshrrev_b32_e32 v24, 16, v1
	s_waitcnt lgkmcnt(0)
	v_bfi_b32 v22, s4, v1, v21
.LBB0_9:
	s_or_b64 exec, exec, s[0:1]
	s_movk_i32 s0, 0xab
	v_mul_lo_u16_sdwa v1, v40, s0 dst_sel:DWORD dst_unused:UNUSED_PAD src0_sel:BYTE_0 src1_sel:DWORD
	v_mul_lo_u16_sdwa v12, v16, s0 dst_sel:DWORD dst_unused:UNUSED_PAD src0_sel:BYTE_0 src1_sel:DWORD
	v_lshrrev_b16_e32 v1, 9, v1
	v_lshrrev_b16_e32 v27, 9, v12
	v_mul_lo_u16_e32 v11, 3, v1
	v_mul_lo_u16_e32 v12, 3, v27
	v_sub_u16_e32 v26, v40, v11
	v_sub_u16_e32 v28, v16, v12
	v_mul_lo_u16_sdwa v13, v15, s0 dst_sel:DWORD dst_unused:UNUSED_PAD src0_sel:BYTE_0 src1_sel:DWORD
	v_lshlrev_b16_e32 v11, 1, v26
	v_lshlrev_b16_e32 v12, 1, v28
	v_lshrrev_b16_e32 v29, 9, v13
	v_and_b32_e32 v11, 0xfe, v11
	v_and_b32_e32 v12, 0xfe, v12
	v_mul_lo_u16_e32 v17, 3, v29
	v_lshlrev_b32_e32 v11, 2, v11
	v_lshlrev_b32_e32 v12, 2, v12
	v_sub_u16_e32 v30, v15, v17
	v_mul_lo_u16_sdwa v15, v25, s0 dst_sel:DWORD dst_unused:UNUSED_PAD src0_sel:BYTE_0 src1_sel:DWORD
	global_load_dwordx2 v[13:14], v11, s[2:3]
	global_load_dwordx2 v[17:18], v12, s[2:3]
	v_lshrrev_b16_e32 v12, 9, v15
	v_mov_b32_e32 v16, 3
	v_mul_lo_u16_e32 v12, 3, v12
	v_lshlrev_b32_sdwa v11, v16, v30 dst_sel:DWORD dst_unused:UNUSED_PAD src0_sel:DWORD src1_sel:BYTE_0
	v_sub_u16_e32 v44, v25, v12
	global_load_dwordx2 v[15:16], v11, s[2:3]
	v_lshlrev_b16_e32 v11, 1, v44
	v_and_b32_e32 v11, 0xfe, v11
	v_lshlrev_b32_e32 v11, 2, v11
	global_load_dwordx2 v[11:12], v11, s[2:3]
	v_mad_legacy_u16 v1, v1, 9, v26
	s_waitcnt lgkmcnt(3)
	v_lshrrev_b32_e32 v25, 16, v3
	s_waitcnt lgkmcnt(2)
	v_lshrrev_b32_e32 v50, 16, v6
	v_and_b32_e32 v1, 0xff, v1
	v_lshrrev_b32_e32 v52, 16, v7
	v_lshrrev_b32_e32 v56, 16, v22
	v_lshl_add_u32 v49, v1, 2, v43
	v_lshrrev_b32_e32 v51, 16, v4
	s_movk_i32 s0, 0x3aee
	s_mov_b32 s1, 0xbaee
	s_waitcnt lgkmcnt(1)
	v_lshrrev_b32_e32 v53, 16, v19
	v_lshrrev_b32_e32 v54, 16, v20
	s_waitcnt lgkmcnt(0)
	v_lshrrev_b32_e32 v55, 16, v23
	s_waitcnt lgkmcnt(0)
	; wave barrier
	s_waitcnt vmcnt(3)
	v_mul_f16_sdwa v1, v25, v13 dst_sel:DWORD dst_unused:UNUSED_PAD src0_sel:DWORD src1_sel:WORD_1
	v_mul_f16_sdwa v26, v3, v13 dst_sel:DWORD dst_unused:UNUSED_PAD src0_sel:DWORD src1_sel:WORD_1
	;; [unrolled: 1-line block ×4, first 2 shown]
	s_waitcnt vmcnt(2)
	v_mul_f16_sdwa v59, v52, v18 dst_sel:DWORD dst_unused:UNUSED_PAD src0_sel:DWORD src1_sel:WORD_1
	v_fma_f16 v71, v3, v13, -v1
	v_fma_f16 v25, v25, v13, v26
	v_fma_f16 v26, v6, v14, -v57
	v_fma_f16 v50, v50, v14, v58
	v_mul_f16_sdwa v60, v7, v18 dst_sel:DWORD dst_unused:UNUSED_PAD src0_sel:DWORD src1_sel:WORD_1
	v_fma_f16 v57, v7, v18, -v59
	s_waitcnt vmcnt(0)
	v_mul_f16_sdwa v68, v24, v11 dst_sel:DWORD dst_unused:UNUSED_PAD src0_sel:DWORD src1_sel:WORD_1
	v_mul_f16_sdwa v69, v56, v12 dst_sel:DWORD dst_unused:UNUSED_PAD src0_sel:DWORD src1_sel:WORD_1
	;; [unrolled: 1-line block ×4, first 2 shown]
	v_fma_f16 v1, v22, v11, -v68
	v_fma_f16 v3, v21, v12, -v69
	v_fma_f16 v7, v56, v12, v70
	v_add_f16_e32 v21, v4, v71
	v_add_f16_e32 v22, v71, v26
	v_sub_f16_e32 v56, v25, v50
	v_add_f16_e32 v58, v51, v25
	v_add_f16_e32 v25, v25, v50
	v_fma_f16 v6, v24, v11, v67
	v_sub_f16_e32 v24, v71, v26
	v_add_f16_e32 v21, v21, v26
	v_add_f16_e32 v26, v58, v50
	v_fma_f16 v25, v25, -0.5, v51
	v_fma_f16 v4, v22, -0.5, v4
	v_mul_f16_sdwa v61, v53, v17 dst_sel:DWORD dst_unused:UNUSED_PAD src0_sel:DWORD src1_sel:WORD_1
	v_pack_b32_f16 v21, v21, v26
	v_fma_f16 v22, v56, s0, v4
	v_fma_f16 v26, v24, s1, v25
	v_mul_f16_sdwa v63, v19, v17 dst_sel:DWORD dst_unused:UNUSED_PAD src0_sel:DWORD src1_sel:WORD_1
	v_fma_f16 v19, v19, v17, -v61
	v_pack_b32_f16 v22, v22, v26
	v_fma_f16 v53, v53, v17, v63
	v_fma_f16 v52, v52, v18, v60
	ds_write2_b32 v49, v21, v22 offset1:3
	v_add_f16_e32 v22, v19, v57
	v_mul_f16_sdwa v62, v54, v15 dst_sel:DWORD dst_unused:UNUSED_PAD src0_sel:DWORD src1_sel:WORD_1
	v_mul_f16_sdwa v65, v55, v16 dst_sel:DWORD dst_unused:UNUSED_PAD src0_sel:DWORD src1_sel:WORD_1
	v_fma_f16 v21, v24, s0, v25
	v_fma_f16 v22, v22, -0.5, v5
	v_lshrrev_b32_e32 v24, 16, v5
	v_sub_f16_e32 v25, v53, v52
	v_add_f16_e32 v50, v53, v52
	v_mul_f16_sdwa v64, v20, v15 dst_sel:DWORD dst_unused:UNUSED_PAD src0_sel:DWORD src1_sel:WORD_1
	v_mul_f16_sdwa v66, v23, v16 dst_sel:DWORD dst_unused:UNUSED_PAD src0_sel:DWORD src1_sel:WORD_1
	v_fma_f16 v20, v20, v15, -v62
	v_fma_f16 v23, v23, v16, -v65
	v_add_f16_e32 v5, v5, v19
	v_fma_f16 v26, v25, s0, v22
	v_fma_f16 v22, v25, s1, v22
	v_add_f16_e32 v25, v24, v53
	v_fma_f16 v24, v50, -0.5, v24
	v_sub_f16_e32 v19, v19, v57
	v_fma_f16 v54, v54, v15, v64
	v_fma_f16 v55, v55, v16, v66
	;; [unrolled: 1-line block ×4, first 2 shown]
	v_add_f16_e32 v24, v20, v23
	v_add_f16_e32 v25, v25, v52
	v_fma_f16 v24, v24, -0.5, v2
	v_lshrrev_b32_e32 v51, 16, v2
	v_sub_f16_e32 v52, v54, v55
	v_fma_f16 v4, v56, s1, v4
	v_fma_f16 v56, v52, s0, v24
	;; [unrolled: 1-line block ×3, first 2 shown]
	v_add_f16_e32 v52, v51, v54
	v_add_f16_e32 v5, v5, v57
	v_add_f16_e32 v2, v2, v20
	v_add_f16_e32 v57, v52, v55
	v_add_f16_e32 v52, v54, v55
	v_fma_f16 v51, v52, -0.5, v51
	v_add_f16_e32 v58, v2, v23
	v_sub_f16_e32 v2, v20, v23
	v_fma_f16 v23, v2, s1, v51
	v_fma_f16 v59, v2, s0, v51
	v_pack_b32_f16 v2, v4, v21
	v_add_f16_e32 v4, v1, v3
	v_mad_legacy_u16 v21, v27, 9, v28
	v_fma_f16 v4, v4, -0.5, v0
	ds_write_b32 v49, v2 offset:24
	v_sub_f16_e32 v2, v6, v7
	v_and_b32_e32 v21, 0xff, v21
	v_fma_f16 v53, v2, s1, v4
	v_fma_f16 v20, v2, s0, v4
	v_pack_b32_f16 v4, v5, v25
	v_add_f16_e32 v5, v6, v7
	v_pack_b32_f16 v25, v26, v50
	v_lshrrev_b32_e32 v2, 16, v0
	v_lshl_add_u32 v51, v21, 2, v43
	v_fma_f16 v5, v5, -0.5, v2
	ds_write2_b32 v51, v4, v25 offset1:3
	v_sub_f16_e32 v4, v1, v3
	v_fma_f16 v54, v4, s1, v5
	v_fma_f16 v55, v4, s0, v5
	v_pack_b32_f16 v4, v22, v19
	ds_write_b32 v51, v4 offset:24
	v_mul_u32_u24_e32 v4, 9, v29
	v_add_u32_sdwa v4, v4, v30 dst_sel:DWORD dst_unused:UNUSED_PAD src0_sel:DWORD src1_sel:BYTE_0
	v_lshl_add_u32 v52, v4, 2, v43
	v_pack_b32_f16 v4, v58, v57
	v_pack_b32_f16 v5, v56, v23
	ds_write2_b32 v52, v4, v5 offset1:3
	v_pack_b32_f16 v4, v24, v59
	ds_write_b32 v52, v4 offset:24
	s_and_saveexec_b64 s[0:1], vcc
	s_cbranch_execz .LBB0_11
; %bb.10:
	v_add_f16_e32 v2, v2, v6
	v_add_f16_e32 v0, v0, v1
	;; [unrolled: 1-line block ×4, first 2 shown]
	v_and_b32_e32 v1, 0xff, v44
	s_mov_b32 s4, 0x5040100
	v_lshl_add_u32 v1, v1, 2, v43
	v_pack_b32_f16 v0, v0, v2
	v_perm_b32 v2, v54, v20, s4
	ds_write2_b32 v1, v0, v2 offset0:81 offset1:84
	v_perm_b32 v0, v55, v53, s4
	ds_write_b32 v1, v0 offset:348
.LBB0_11:
	s_or_b64 exec, exec, s[0:1]
	v_mad_u64_u32 v[21:22], s[0:1], v40, 36, s[2:3]
	s_waitcnt lgkmcnt(0)
	; wave barrier
	s_waitcnt lgkmcnt(0)
	global_load_dwordx4 v[0:3], v[21:22], off offset:24
	global_load_dwordx4 v[4:7], v[21:22], off offset:40
	global_load_dword v50, v[21:22], off offset:56
	ds_read2_b32 v[21:22], v31 offset1:9
	ds_read2_b32 v[23:24], v31 offset0:18 offset1:27
	ds_read2_b32 v[25:26], v31 offset0:36 offset1:45
	;; [unrolled: 1-line block ×4, first 2 shown]
	s_waitcnt lgkmcnt(4)
	v_lshrrev_b32_e32 v56, 16, v22
	s_waitcnt lgkmcnt(3)
	v_lshrrev_b32_e32 v57, 16, v23
	;; [unrolled: 2-line block ×5, first 2 shown]
	v_lshrrev_b32_e32 v58, 16, v24
	v_lshrrev_b32_e32 v60, 16, v26
	s_movk_i32 s0, 0x3b9c
	s_mov_b32 s3, 0xbb9c
	v_lshrrev_b32_e32 v19, 16, v21
	s_movk_i32 s1, 0x38b4
	s_mov_b32 s4, 0xb8b4
	s_movk_i32 s2, 0x34f2
	v_lshrrev_b32_e32 v62, 16, v28
	v_lshrrev_b32_e32 v64, 16, v30
	s_movk_i32 s5, 0x3a79
	s_waitcnt vmcnt(2)
	v_mul_f16_sdwa v67, v57, v1 dst_sel:DWORD dst_unused:UNUSED_PAD src0_sel:DWORD src1_sel:WORD_1
	v_mul_f16_sdwa v71, v59, v3 dst_sel:DWORD dst_unused:UNUSED_PAD src0_sel:DWORD src1_sel:WORD_1
	s_waitcnt vmcnt(1)
	v_mul_f16_sdwa v75, v61, v5 dst_sel:DWORD dst_unused:UNUSED_PAD src0_sel:DWORD src1_sel:WORD_1
	v_mul_f16_sdwa v79, v63, v7 dst_sel:DWORD dst_unused:UNUSED_PAD src0_sel:DWORD src1_sel:WORD_1
	;; [unrolled: 1-line block ×7, first 2 shown]
	v_fma_f16 v23, v23, v1, -v67
	v_fma_f16 v25, v25, v3, -v71
	;; [unrolled: 1-line block ×4, first 2 shown]
	v_mul_f16_sdwa v65, v56, v0 dst_sel:DWORD dst_unused:UNUSED_PAD src0_sel:DWORD src1_sel:WORD_1
	v_mul_f16_sdwa v69, v58, v2 dst_sel:DWORD dst_unused:UNUSED_PAD src0_sel:DWORD src1_sel:WORD_1
	;; [unrolled: 1-line block ×4, first 2 shown]
	v_fma_f16 v56, v56, v0, v66
	v_fma_f16 v57, v57, v1, v68
	;; [unrolled: 1-line block ×5, first 2 shown]
	v_add_f16_e32 v66, v25, v27
	v_add_f16_e32 v71, v23, v29
	v_mul_f16_sdwa v74, v26, v4 dst_sel:DWORD dst_unused:UNUSED_PAD src0_sel:DWORD src1_sel:WORD_1
	v_fma_f16 v22, v22, v0, -v65
	v_fma_f16 v24, v24, v2, -v69
	v_fma_f16 v58, v58, v2, v70
	v_fma_f16 v26, v26, v4, -v73
	v_add_f16_e32 v65, v21, v23
	v_sub_f16_e32 v67, v57, v63
	v_sub_f16_e32 v68, v59, v61
	v_sub_f16_e32 v69, v23, v25
	v_sub_f16_e32 v70, v29, v27
	v_sub_f16_e32 v72, v25, v23
	v_sub_f16_e32 v73, v27, v29
	v_fma_f16 v66, v66, -0.5, v21
	v_fma_f16 v21, v71, -0.5, v21
	v_add_f16_e32 v69, v69, v70
	v_add_f16_e32 v70, v72, v73
	v_fma_f16 v71, v67, s0, v66
	v_fma_f16 v66, v67, s3, v66
	;; [unrolled: 1-line block ×8, first 2 shown]
	v_add_f16_e32 v65, v65, v25
	v_fma_f16 v68, v70, s2, v68
	v_fma_f16 v21, v70, s2, v21
	v_add_f16_e32 v70, v59, v61
	v_add_f16_e32 v65, v65, v27
	v_fma_f16 v70, v70, -0.5, v19
	v_sub_f16_e32 v23, v23, v29
	v_add_f16_e32 v65, v65, v29
	v_fma_f16 v29, v23, s3, v70
	v_sub_f16_e32 v25, v25, v27
	v_fma_f16 v67, v69, s2, v71
	v_fma_f16 v27, v25, s4, v29
	v_sub_f16_e32 v29, v57, v59
	v_sub_f16_e32 v71, v63, v61
	v_fma_f16 v70, v23, s0, v70
	v_add_f16_e32 v29, v29, v71
	v_fma_f16 v70, v25, s1, v70
	v_fma_f16 v27, v29, s2, v27
	;; [unrolled: 1-line block ×3, first 2 shown]
	v_add_f16_e32 v70, v57, v63
	v_mul_f16_sdwa v77, v62, v6 dst_sel:DWORD dst_unused:UNUSED_PAD src0_sel:DWORD src1_sel:WORD_1
	v_fma_f16 v66, v69, s2, v66
	v_add_f16_e32 v69, v19, v57
	v_fma_f16 v19, v70, -0.5, v19
	v_mul_f16_sdwa v78, v28, v6 dst_sel:DWORD dst_unused:UNUSED_PAD src0_sel:DWORD src1_sel:WORD_1
	s_waitcnt vmcnt(0)
	v_mul_f16_sdwa v82, v30, v50 dst_sel:DWORD dst_unused:UNUSED_PAD src0_sel:DWORD src1_sel:WORD_1
	v_fma_f16 v28, v28, v6, -v77
	v_add_f16_e32 v69, v69, v59
	v_fma_f16 v70, v25, s0, v19
	v_sub_f16_e32 v57, v59, v57
	v_sub_f16_e32 v59, v61, v63
	v_fma_f16 v19, v25, s3, v19
	v_mul_f16_sdwa v81, v64, v50 dst_sel:DWORD dst_unused:UNUSED_PAD src0_sel:DWORD src1_sel:WORD_1
	v_fma_f16 v64, v64, v50, v82
	v_fma_f16 v70, v23, s4, v70
	v_add_f16_e32 v57, v57, v59
	v_fma_f16 v19, v23, s1, v19
	v_add_f16_e32 v25, v26, v28
	v_fma_f16 v60, v60, v4, v74
	v_fma_f16 v62, v62, v6, v78
	v_fma_f16 v30, v30, v50, -v81
	v_add_f16_e32 v69, v69, v61
	v_fma_f16 v59, v57, s2, v70
	v_fma_f16 v23, v57, s2, v19
	v_fma_f16 v25, v25, -0.5, v22
	v_sub_f16_e32 v57, v58, v64
	v_add_f16_e32 v69, v69, v63
	v_fma_f16 v61, v57, s0, v25
	v_sub_f16_e32 v63, v60, v62
	v_sub_f16_e32 v70, v24, v26
	;; [unrolled: 1-line block ×3, first 2 shown]
	v_fma_f16 v25, v57, s3, v25
	v_fma_f16 v61, v63, s1, v61
	v_add_f16_e32 v70, v70, v71
	v_fma_f16 v25, v63, s4, v25
	v_fma_f16 v61, v70, s2, v61
	;; [unrolled: 1-line block ×3, first 2 shown]
	v_add_f16_e32 v70, v24, v30
	v_add_f16_e32 v19, v22, v24
	v_fma_f16 v22, v70, -0.5, v22
	v_add_f16_e32 v19, v19, v26
	v_fma_f16 v70, v63, s3, v22
	v_fma_f16 v22, v63, s0, v22
	v_add_f16_e32 v63, v60, v62
	v_add_f16_e32 v19, v19, v28
	v_sub_f16_e32 v71, v26, v24
	v_sub_f16_e32 v72, v28, v30
	v_fma_f16 v63, v63, -0.5, v56
	v_sub_f16_e32 v24, v24, v30
	v_add_f16_e32 v19, v19, v30
	v_fma_f16 v70, v57, s1, v70
	v_add_f16_e32 v71, v71, v72
	v_fma_f16 v22, v57, s4, v22
	v_fma_f16 v30, v24, s3, v63
	v_sub_f16_e32 v26, v26, v28
	v_fma_f16 v70, v71, s2, v70
	v_fma_f16 v22, v71, s2, v22
	;; [unrolled: 1-line block ×3, first 2 shown]
	v_sub_f16_e32 v30, v58, v60
	v_sub_f16_e32 v71, v64, v62
	v_fma_f16 v63, v24, s0, v63
	v_add_f16_e32 v30, v30, v71
	v_fma_f16 v63, v26, s1, v63
	v_fma_f16 v28, v30, s2, v28
	;; [unrolled: 1-line block ×3, first 2 shown]
	v_add_f16_e32 v63, v58, v64
	v_add_f16_e32 v57, v56, v58
	v_fma_f16 v56, v63, -0.5, v56
	v_add_f16_e32 v57, v57, v60
	v_fma_f16 v63, v26, s0, v56
	v_sub_f16_e32 v58, v60, v58
	v_sub_f16_e32 v60, v62, v64
	v_fma_f16 v63, v24, s4, v63
	v_add_f16_e32 v58, v58, v60
	v_fma_f16 v26, v26, s3, v56
	v_add_f16_e32 v57, v57, v62
	v_fma_f16 v60, v58, s2, v63
	v_fma_f16 v24, v24, s1, v26
	v_mul_f16_e32 v56, 0x38b4, v28
	v_add_f16_e32 v57, v57, v64
	v_fma_f16 v24, v58, s2, v24
	v_fma_f16 v56, v61, s5, v56
	v_mul_f16_e32 v62, 0x3b9c, v60
	v_mul_f16_e32 v64, 0x34f2, v22
	;; [unrolled: 1-line block ×4, first 2 shown]
	v_fma_f16 v62, v70, s2, v62
	v_fma_f16 v64, v24, s0, -v64
	v_fma_f16 v72, v30, s1, -v72
	v_fma_f16 v28, v28, s5, v61
	v_mul_f16_e32 v70, 0xbb9c, v70
	v_mul_f16_e32 v24, 0x34f2, v24
	;; [unrolled: 1-line block ×3, first 2 shown]
	v_add_f16_e32 v26, v65, v19
	v_add_f16_e32 v58, v67, v56
	;; [unrolled: 1-line block ×4, first 2 shown]
	v_fma_f16 v60, v60, s2, v70
	v_fma_f16 v22, v22, s3, -v24
	v_fma_f16 v25, v25, s4, -v30
	v_add_f16_e32 v63, v68, v62
	v_add_f16_e32 v71, v21, v64
	;; [unrolled: 1-line block ×5, first 2 shown]
	v_sub_f16_e32 v67, v67, v56
	v_sub_f16_e32 v22, v23, v22
	;; [unrolled: 1-line block ×3, first 2 shown]
	v_pack_b32_f16 v23, v26, v74
	v_pack_b32_f16 v25, v58, v61
	v_add_f16_e32 v73, v66, v72
	v_sub_f16_e32 v65, v65, v19
	v_sub_f16_e32 v57, v69, v57
	ds_write2_b32 v31, v23, v25 offset1:9
	v_pack_b32_f16 v23, v63, v70
	v_pack_b32_f16 v24, v71, v24
	v_sub_f16_e32 v62, v68, v62
	v_sub_f16_e32 v21, v21, v64
	;; [unrolled: 1-line block ×5, first 2 shown]
	ds_write2_b32 v31, v23, v24 offset0:18 offset1:27
	v_pack_b32_f16 v23, v73, v30
	v_pack_b32_f16 v24, v65, v57
	ds_write2_b32 v31, v23, v24 offset0:36 offset1:45
	v_pack_b32_f16 v23, v67, v27
	v_pack_b32_f16 v24, v62, v28
	;; [unrolled: 1-line block ×4, first 2 shown]
	ds_write2_b32 v31, v23, v24 offset0:54 offset1:63
	ds_write2_b32 v31, v21, v22 offset0:72 offset1:81
	s_waitcnt lgkmcnt(0)
	; wave barrier
	s_waitcnt lgkmcnt(0)
	global_load_dword v26, v[8:9], off offset:360
	s_add_u32 s0, s12, 0x168
	s_addc_u32 s1, s13, 0
	v_lshlrev_b32_e32 v21, 2, v40
	global_load_dword v28, v21, s[0:1] offset:120
	global_load_dword v29, v21, s[0:1] offset:240
	;; [unrolled: 1-line block ×8, first 2 shown]
	ds_read2_b32 v[22:23], v31 offset1:9
	ds_read2_b32 v[24:25], v31 offset0:18 offset1:30
	s_waitcnt lgkmcnt(1)
	v_lshrrev_b32_e32 v27, 16, v22
	s_waitcnt vmcnt(8)
	v_mul_f16_sdwa v62, v27, v26 dst_sel:DWORD dst_unused:UNUSED_PAD src0_sel:DWORD src1_sel:WORD_1
	v_fma_f16 v62, v22, v26, -v62
	v_mul_f16_sdwa v22, v22, v26 dst_sel:DWORD dst_unused:UNUSED_PAD src0_sel:DWORD src1_sel:WORD_1
	v_fma_f16 v22, v27, v26, v22
	ds_read2_b32 v[26:27], v31 offset0:60 offset1:69
	v_pack_b32_f16 v22, v62, v22
	s_waitcnt lgkmcnt(1)
	v_lshrrev_b32_e32 v62, 16, v25
	s_waitcnt vmcnt(7)
	v_mul_f16_sdwa v63, v62, v28 dst_sel:DWORD dst_unused:UNUSED_PAD src0_sel:DWORD src1_sel:WORD_1
	v_fma_f16 v63, v25, v28, -v63
	v_mul_f16_sdwa v25, v25, v28 dst_sel:DWORD dst_unused:UNUSED_PAD src0_sel:DWORD src1_sel:WORD_1
	v_fma_f16 v25, v62, v28, v25
	v_pack_b32_f16 v28, v63, v25
	s_waitcnt lgkmcnt(0)
	v_lshrrev_b32_e32 v25, 16, v26
	s_waitcnt vmcnt(6)
	v_mul_f16_sdwa v62, v25, v29 dst_sel:DWORD dst_unused:UNUSED_PAD src0_sel:DWORD src1_sel:WORD_1
	v_fma_f16 v62, v26, v29, -v62
	v_mul_f16_sdwa v26, v26, v29 dst_sel:DWORD dst_unused:UNUSED_PAD src0_sel:DWORD src1_sel:WORD_1
	v_fma_f16 v25, v25, v29, v26
	v_pack_b32_f16 v29, v62, v25
	v_lshrrev_b32_e32 v62, 16, v23
	s_waitcnt vmcnt(5)
	v_mul_f16_sdwa v25, v62, v30 dst_sel:DWORD dst_unused:UNUSED_PAD src0_sel:DWORD src1_sel:WORD_1
	v_fma_f16 v63, v23, v30, -v25
	ds_read2_b32 v[25:26], v31 offset0:39 offset1:48
	v_mul_f16_sdwa v23, v23, v30 dst_sel:DWORD dst_unused:UNUSED_PAD src0_sel:DWORD src1_sel:WORD_1
	v_fma_f16 v23, v62, v30, v23
	v_pack_b32_f16 v23, v63, v23
	ds_write2_b32 v31, v22, v23 offset1:9
	s_waitcnt lgkmcnt(1)
	v_lshrrev_b32_e32 v22, 16, v25
	s_waitcnt vmcnt(4)
	v_mul_f16_sdwa v23, v22, v57 dst_sel:DWORD dst_unused:UNUSED_PAD src0_sel:DWORD src1_sel:WORD_1
	v_fma_f16 v23, v25, v57, -v23
	v_mul_f16_sdwa v25, v25, v57 dst_sel:DWORD dst_unused:UNUSED_PAD src0_sel:DWORD src1_sel:WORD_1
	v_fma_f16 v22, v22, v57, v25
	v_pack_b32_f16 v22, v23, v22
	v_lshrrev_b32_e32 v23, 16, v27
	s_waitcnt vmcnt(3)
	v_mul_f16_sdwa v25, v23, v58 dst_sel:DWORD dst_unused:UNUSED_PAD src0_sel:DWORD src1_sel:WORD_1
	v_fma_f16 v25, v27, v58, -v25
	v_mul_f16_sdwa v27, v27, v58 dst_sel:DWORD dst_unused:UNUSED_PAD src0_sel:DWORD src1_sel:WORD_1
	v_fma_f16 v23, v23, v58, v27
	v_pack_b32_f16 v23, v25, v23
	ds_write2_b32 v31, v29, v23 offset0:60 offset1:69
	v_lshrrev_b32_e32 v23, 16, v24
	s_waitcnt vmcnt(2)
	v_mul_f16_sdwa v25, v23, v59 dst_sel:DWORD dst_unused:UNUSED_PAD src0_sel:DWORD src1_sel:WORD_1
	v_fma_f16 v25, v24, v59, -v25
	v_mul_f16_sdwa v24, v24, v59 dst_sel:DWORD dst_unused:UNUSED_PAD src0_sel:DWORD src1_sel:WORD_1
	v_fma_f16 v23, v23, v59, v24
	v_pack_b32_f16 v23, v25, v23
	ds_write2_b32 v31, v23, v28 offset0:18 offset1:30
	v_lshrrev_b32_e32 v23, 16, v26
	ds_read_b32 v25, v31 offset:312
	s_waitcnt vmcnt(1)
	v_mul_f16_sdwa v24, v23, v60 dst_sel:DWORD dst_unused:UNUSED_PAD src0_sel:DWORD src1_sel:WORD_1
	v_fma_f16 v24, v26, v60, -v24
	v_mul_f16_sdwa v26, v26, v60 dst_sel:DWORD dst_unused:UNUSED_PAD src0_sel:DWORD src1_sel:WORD_1
	v_fma_f16 v23, v23, v60, v26
	v_pack_b32_f16 v23, v24, v23
	ds_write2_b32 v31, v22, v23 offset0:39 offset1:48
	s_waitcnt lgkmcnt(1)
	v_lshrrev_b32_e32 v22, 16, v25
	s_waitcnt vmcnt(0)
	v_mul_f16_sdwa v23, v22, v61 dst_sel:DWORD dst_unused:UNUSED_PAD src0_sel:DWORD src1_sel:WORD_1
	v_mul_f16_sdwa v24, v25, v61 dst_sel:DWORD dst_unused:UNUSED_PAD src0_sel:DWORD src1_sel:WORD_1
	v_fma_f16 v23, v25, v61, -v23
	v_fma_f16 v22, v22, v61, v24
	v_pack_b32_f16 v22, v23, v22
	ds_write_b32 v31, v22 offset:312
	s_and_saveexec_b64 s[2:3], vcc
	s_cbranch_execz .LBB0_13
; %bb.12:
	v_mov_b32_e32 v22, s1
	v_add_co_u32_e64 v21, s[0:1], s0, v21
	v_addc_co_u32_e64 v22, s[0:1], 0, v22, s[0:1]
	global_load_dword v23, v[21:22], off offset:108
	global_load_dword v24, v[21:22], off offset:228
	;; [unrolled: 1-line block ×3, first 2 shown]
	ds_read2_b32 v[21:22], v31 offset0:27 offset1:57
	ds_read_b32 v26, v31 offset:348
	s_waitcnt lgkmcnt(1)
	v_lshrrev_b32_e32 v27, 16, v21
	v_lshrrev_b32_e32 v28, 16, v22
	s_waitcnt lgkmcnt(0)
	v_lshrrev_b32_e32 v29, 16, v26
	s_waitcnt vmcnt(2)
	v_mul_f16_sdwa v30, v27, v23 dst_sel:DWORD dst_unused:UNUSED_PAD src0_sel:DWORD src1_sel:WORD_1
	v_mul_f16_sdwa v57, v21, v23 dst_sel:DWORD dst_unused:UNUSED_PAD src0_sel:DWORD src1_sel:WORD_1
	s_waitcnt vmcnt(1)
	v_mul_f16_sdwa v58, v28, v24 dst_sel:DWORD dst_unused:UNUSED_PAD src0_sel:DWORD src1_sel:WORD_1
	v_mul_f16_sdwa v59, v22, v24 dst_sel:DWORD dst_unused:UNUSED_PAD src0_sel:DWORD src1_sel:WORD_1
	;; [unrolled: 3-line block ×3, first 2 shown]
	v_fma_f16 v21, v21, v23, -v30
	v_fma_f16 v23, v27, v23, v57
	v_fma_f16 v22, v22, v24, -v58
	v_fma_f16 v24, v28, v24, v59
	v_fma_f16 v26, v26, v25, -v60
	v_fma_f16 v25, v29, v25, v61
	v_pack_b32_f16 v21, v21, v23
	v_pack_b32_f16 v22, v22, v24
	;; [unrolled: 1-line block ×3, first 2 shown]
	ds_write2_b32 v31, v21, v22 offset0:27 offset1:57
	ds_write_b32 v31, v23 offset:348
.LBB0_13:
	s_or_b64 exec, exec, s[2:3]
	s_waitcnt lgkmcnt(0)
	; wave barrier
	s_waitcnt lgkmcnt(0)
	ds_read2_b32 v[27:28], v31 offset1:9
	ds_read2_b32 v[23:24], v31 offset0:18 offset1:30
	ds_read2_b32 v[29:30], v31 offset0:60 offset1:69
	;; [unrolled: 1-line block ×3, first 2 shown]
	ds_read_b32 v59, v31 offset:312
	s_and_saveexec_b64 s[0:1], vcc
	s_cbranch_execz .LBB0_15
; %bb.14:
	ds_read2_b32 v[19:20], v31 offset0:27 offset1:57
	ds_read_b32 v53, v31 offset:348
	s_waitcnt lgkmcnt(1)
	v_lshrrev_b32_e32 v56, 16, v19
	v_lshrrev_b32_e32 v54, 16, v20
	s_waitcnt lgkmcnt(0)
	v_lshrrev_b32_e32 v55, 16, v53
.LBB0_15:
	s_or_b64 exec, exec, s[0:1]
	v_add_f16_e32 v22, v20, v53
	v_add_f16_e32 v21, v19, v20
	v_fma_f16 v19, v22, -0.5, v19
	v_sub_f16_e32 v57, v54, v55
	s_mov_b32 s0, 0xbaee
	s_movk_i32 s1, 0x3aee
	v_fma_f16 v22, v57, s0, v19
	v_fma_f16 v58, v57, s1, v19
	v_add_f16_e32 v19, v56, v54
	v_add_f16_e32 v57, v19, v55
	;; [unrolled: 1-line block ×3, first 2 shown]
	v_fma_f16 v19, v19, -0.5, v56
	v_sub_f16_e32 v20, v20, v53
	s_waitcnt lgkmcnt(3)
	v_pk_add_f16 v60, v27, v24
	v_add_f16_e32 v21, v21, v53
	v_fma_f16 v53, v20, s1, v19
	v_fma_f16 v54, v20, s0, v19
	s_waitcnt lgkmcnt(2)
	v_pk_add_f16 v20, v24, v29
	v_pk_add_f16 v24, v24, v29 neg_lo:[0,1] neg_hi:[0,1]
	v_pk_fma_f16 v20, v20, 0.5, v27 op_sel_hi:[1,0,1] neg_lo:[1,0,0] neg_hi:[1,0,0]
	v_pk_mul_f16 v24, v24, s1 op_sel_hi:[1,0]
	v_pk_add_f16 v27, v20, v24 op_sel:[0,1] op_sel_hi:[1,0] neg_lo:[0,1] neg_hi:[0,1]
	v_pk_add_f16 v20, v20, v24 op_sel:[0,1] op_sel_hi:[1,0]
	s_mov_b32 s0, 0xffff
	v_pk_add_f16 v19, v60, v29
	v_bfi_b32 v24, s0, v27, v20
	s_waitcnt lgkmcnt(0)
	; wave barrier
	s_waitcnt lgkmcnt(0)
	ds_write2_b32 v45, v19, v24 offset1:1
	v_bfi_b32 v19, s0, v20, v27
	v_pk_add_f16 v20, v25, v30
	v_pk_add_f16 v24, v25, v30 neg_lo:[0,1] neg_hi:[0,1]
	v_pk_fma_f16 v20, v20, 0.5, v28 op_sel_hi:[1,0,1] neg_lo:[1,0,0] neg_hi:[1,0,0]
	v_pk_mul_f16 v24, v24, s1 op_sel_hi:[1,0]
	v_pk_add_f16 v61, v28, v25
	v_pk_add_f16 v25, v20, v24 op_sel:[0,1] op_sel_hi:[1,0] neg_lo:[0,1] neg_hi:[0,1]
	v_pk_add_f16 v20, v20, v24 op_sel:[0,1] op_sel_hi:[1,0]
	ds_write_b32 v45, v19 offset:8
	v_pk_add_f16 v19, v61, v30
	v_bfi_b32 v24, s0, v25, v20
	ds_write2_b32 v46, v19, v24 offset1:1
	v_bfi_b32 v19, s0, v20, v25
	v_pk_add_f16 v20, v26, v59
	v_pk_add_f16 v62, v23, v26
	v_pk_fma_f16 v20, v20, 0.5, v23 op_sel_hi:[1,0,1] neg_lo:[1,0,0] neg_hi:[1,0,0]
	v_pk_add_f16 v23, v26, v59 neg_lo:[0,1] neg_hi:[0,1]
	v_pk_mul_f16 v23, v23, s1 op_sel_hi:[1,0]
	v_pk_add_f16 v24, v20, v23 op_sel:[0,1] op_sel_hi:[1,0] neg_lo:[0,1] neg_hi:[0,1]
	v_pk_add_f16 v20, v20, v23 op_sel:[0,1] op_sel_hi:[1,0]
	ds_write_b32 v46, v19 offset:8
	v_pk_add_f16 v19, v62, v59
	v_bfi_b32 v23, s0, v24, v20
	ds_write2_b32 v47, v19, v23 offset1:1
	v_bfi_b32 v19, s0, v20, v24
	ds_write_b32 v47, v19 offset:8
	s_and_saveexec_b64 s[0:1], vcc
	s_cbranch_execz .LBB0_17
; %bb.16:
	s_mov_b32 s2, 0x5040100
	v_lshl_add_u32 v19, v48, 2, v43
	v_perm_b32 v20, v53, v22, s2
	v_perm_b32 v23, v57, v21, s2
	ds_write2_b32 v19, v23, v20 offset1:1
	v_perm_b32 v20, v54, v58, s2
	ds_write_b32 v19, v20 offset:8
.LBB0_17:
	s_or_b64 exec, exec, s[0:1]
	s_waitcnt lgkmcnt(0)
	; wave barrier
	s_waitcnt lgkmcnt(0)
	ds_read2_b32 v[23:24], v31 offset1:9
	ds_read2_b32 v[19:20], v31 offset0:18 offset1:30
	ds_read2_b32 v[27:28], v31 offset0:60 offset1:69
	ds_read2_b32 v[25:26], v31 offset0:39 offset1:48
	ds_read_b32 v29, v31 offset:312
	s_and_saveexec_b64 s[0:1], vcc
	s_cbranch_execz .LBB0_19
; %bb.18:
	ds_read2_b32 v[21:22], v31 offset0:27 offset1:57
	ds_read_b32 v58, v31 offset:348
	s_waitcnt lgkmcnt(1)
	v_lshrrev_b32_e32 v57, 16, v21
	v_lshrrev_b32_e32 v53, 16, v22
	s_waitcnt lgkmcnt(0)
	v_lshrrev_b32_e32 v54, 16, v58
.LBB0_19:
	s_or_b64 exec, exec, s[0:1]
	s_waitcnt lgkmcnt(3)
	v_lshrrev_b32_e32 v45, 16, v20
	v_mul_f16_sdwa v61, v13, v45 dst_sel:DWORD dst_unused:UNUSED_PAD src0_sel:WORD_1 src1_sel:DWORD
	s_waitcnt lgkmcnt(2)
	v_lshrrev_b32_e32 v46, 16, v27
	v_fma_f16 v61, v13, v20, v61
	v_mul_f16_sdwa v20, v13, v20 dst_sel:DWORD dst_unused:UNUSED_PAD src0_sel:WORD_1 src1_sel:DWORD
	v_fma_f16 v13, v13, v45, -v20
	v_mul_f16_sdwa v20, v14, v46 dst_sel:DWORD dst_unused:UNUSED_PAD src0_sel:WORD_1 src1_sel:DWORD
	s_waitcnt lgkmcnt(1)
	v_lshrrev_b32_e32 v48, 16, v25
	v_fma_f16 v20, v14, v27, v20
	v_mul_f16_sdwa v27, v14, v27 dst_sel:DWORD dst_unused:UNUSED_PAD src0_sel:WORD_1 src1_sel:DWORD
	v_fma_f16 v14, v14, v46, -v27
	v_mul_f16_sdwa v27, v17, v48 dst_sel:DWORD dst_unused:UNUSED_PAD src0_sel:WORD_1 src1_sel:DWORD
	v_lshrrev_b32_e32 v55, 16, v28
	v_fma_f16 v27, v17, v25, v27
	v_mul_f16_sdwa v25, v17, v25 dst_sel:DWORD dst_unused:UNUSED_PAD src0_sel:WORD_1 src1_sel:DWORD
	v_fma_f16 v17, v17, v48, -v25
	v_mul_f16_sdwa v25, v18, v55 dst_sel:DWORD dst_unused:UNUSED_PAD src0_sel:WORD_1 src1_sel:DWORD
	;; [unrolled: 5-line block ×3, first 2 shown]
	s_waitcnt lgkmcnt(0)
	v_lshrrev_b32_e32 v60, 16, v29
	v_fma_f16 v28, v15, v26, v28
	v_mul_f16_sdwa v26, v15, v26 dst_sel:DWORD dst_unused:UNUSED_PAD src0_sel:WORD_1 src1_sel:DWORD
	v_fma_f16 v15, v15, v59, -v26
	v_mul_f16_sdwa v26, v16, v60 dst_sel:DWORD dst_unused:UNUSED_PAD src0_sel:WORD_1 src1_sel:DWORD
	v_fma_f16 v26, v16, v29, v26
	v_mul_f16_sdwa v29, v16, v29 dst_sel:DWORD dst_unused:UNUSED_PAD src0_sel:WORD_1 src1_sel:DWORD
	v_add_f16_e32 v45, v61, v20
	v_lshrrev_b32_e32 v30, 16, v23
	v_fma_f16 v16, v16, v60, -v29
	v_add_f16_e32 v29, v23, v61
	v_fma_f16 v23, v45, -0.5, v23
	v_sub_f16_e32 v45, v13, v14
	s_mov_b32 s2, 0xbaee
	s_movk_i32 s3, 0x3aee
	v_fma_f16 v46, v45, s2, v23
	v_fma_f16 v23, v45, s3, v23
	v_add_f16_e32 v45, v30, v13
	v_add_f16_e32 v13, v13, v14
	;; [unrolled: 1-line block ×3, first 2 shown]
	v_fma_f16 v13, v13, -0.5, v30
	v_sub_f16_e32 v14, v61, v20
	v_add_f16_e32 v30, v27, v25
	v_lshrrev_b32_e32 v47, 16, v24
	v_add_f16_e32 v29, v29, v20
	v_fma_f16 v20, v14, s3, v13
	v_fma_f16 v13, v14, s2, v13
	v_add_f16_e32 v14, v24, v27
	v_fma_f16 v24, v30, -0.5, v24
	v_sub_f16_e32 v30, v17, v18
	v_fma_f16 v48, v30, s2, v24
	v_fma_f16 v24, v30, s3, v24
	v_add_f16_e32 v30, v47, v17
	v_add_f16_e32 v17, v17, v18
	;; [unrolled: 1-line block ×3, first 2 shown]
	v_fma_f16 v17, v17, -0.5, v47
	v_sub_f16_e32 v18, v27, v25
	v_add_f16_e32 v27, v28, v26
	v_lshrrev_b32_e32 v56, 16, v19
	v_add_f16_e32 v14, v14, v25
	v_fma_f16 v25, v18, s3, v17
	v_fma_f16 v17, v18, s2, v17
	v_add_f16_e32 v18, v19, v28
	v_fma_f16 v19, v27, -0.5, v19
	v_sub_f16_e32 v27, v15, v16
	v_fma_f16 v47, v27, s2, v19
	v_fma_f16 v19, v27, s3, v19
	v_add_f16_e32 v27, v56, v15
	v_add_f16_e32 v15, v15, v16
	;; [unrolled: 1-line block ×3, first 2 shown]
	v_fma_f16 v15, v15, -0.5, v56
	v_sub_f16_e32 v16, v28, v26
	v_pack_b32_f16 v13, v23, v13
	v_add_f16_e32 v18, v18, v26
	v_fma_f16 v26, v16, s3, v15
	v_fma_f16 v15, v16, s2, v15
	s_waitcnt lgkmcnt(0)
	; wave barrier
	v_pack_b32_f16 v16, v29, v45
	v_pack_b32_f16 v20, v46, v20
	ds_write_b32 v49, v13 offset:24
	v_pack_b32_f16 v13, v14, v30
	v_pack_b32_f16 v14, v48, v25
	ds_write2_b32 v49, v16, v20 offset1:3
	ds_write2_b32 v51, v13, v14 offset1:3
	v_pack_b32_f16 v13, v24, v17
	ds_write_b32 v51, v13 offset:24
	v_pack_b32_f16 v13, v18, v27
	v_pack_b32_f16 v14, v47, v26
	ds_write2_b32 v52, v13, v14 offset1:3
	v_pack_b32_f16 v13, v19, v15
	ds_write_b32 v52, v13 offset:24
	s_and_saveexec_b64 s[0:1], vcc
	s_cbranch_execz .LBB0_21
; %bb.20:
	v_mul_f16_sdwa v13, v11, v22 dst_sel:DWORD dst_unused:UNUSED_PAD src0_sel:WORD_1 src1_sel:DWORD
	v_mul_f16_sdwa v14, v12, v58 dst_sel:DWORD dst_unused:UNUSED_PAD src0_sel:WORD_1 src1_sel:DWORD
	;; [unrolled: 1-line block ×3, first 2 shown]
	v_fma_f16 v13, v11, v53, -v13
	v_fma_f16 v14, v12, v54, -v14
	v_fma_f16 v11, v11, v22, v16
	v_mul_f16_sdwa v16, v12, v54 dst_sel:DWORD dst_unused:UNUSED_PAD src0_sel:WORD_1 src1_sel:DWORD
	v_add_f16_e32 v15, v13, v14
	v_fma_f16 v12, v12, v58, v16
	v_fma_f16 v15, v15, -0.5, v57
	v_sub_f16_e32 v16, v11, v12
	v_add_f16_e32 v18, v11, v12
	v_fma_f16 v17, v16, s2, v15
	v_fma_f16 v15, v16, s3, v15
	v_add_f16_e32 v16, v57, v13
	v_fma_f16 v18, v18, -0.5, v21
	v_sub_f16_e32 v13, v13, v14
	v_add_f16_e32 v11, v21, v11
	v_add_f16_e32 v16, v16, v14
	v_fma_f16 v14, v13, s3, v18
	v_fma_f16 v13, v13, s2, v18
	v_add_f16_e32 v11, v11, v12
	v_and_b32_e32 v12, 0xff, v44
	v_lshl_add_u32 v12, v12, 2, v43
	v_pack_b32_f16 v11, v11, v16
	v_pack_b32_f16 v13, v13, v15
	ds_write2_b32 v12, v11, v13 offset0:81 offset1:84
	v_pack_b32_f16 v11, v14, v17
	ds_write_b32 v12, v11 offset:348
.LBB0_21:
	s_or_b64 exec, exec, s[0:1]
	s_waitcnt lgkmcnt(0)
	; wave barrier
	s_waitcnt lgkmcnt(0)
	ds_read2_b32 v[11:12], v31 offset1:9
	ds_read2_b32 v[13:14], v31 offset0:18 offset1:27
	ds_read2_b32 v[15:16], v31 offset0:36 offset1:45
	;; [unrolled: 1-line block ×4, first 2 shown]
	s_waitcnt lgkmcnt(4)
	v_lshrrev_b32_e32 v22, 16, v12
	v_mul_f16_sdwa v43, v0, v22 dst_sel:DWORD dst_unused:UNUSED_PAD src0_sel:WORD_1 src1_sel:DWORD
	s_waitcnt lgkmcnt(3)
	v_lshrrev_b32_e32 v23, 16, v13
	v_fma_f16 v43, v0, v12, v43
	v_mul_f16_sdwa v12, v0, v12 dst_sel:DWORD dst_unused:UNUSED_PAD src0_sel:WORD_1 src1_sel:DWORD
	v_fma_f16 v0, v0, v22, -v12
	v_mul_f16_sdwa v12, v1, v23 dst_sel:DWORD dst_unused:UNUSED_PAD src0_sel:WORD_1 src1_sel:DWORD
	v_lshrrev_b32_e32 v24, 16, v14
	v_fma_f16 v12, v1, v13, v12
	v_mul_f16_sdwa v13, v1, v13 dst_sel:DWORD dst_unused:UNUSED_PAD src0_sel:WORD_1 src1_sel:DWORD
	v_fma_f16 v1, v1, v23, -v13
	v_mul_f16_sdwa v13, v2, v24 dst_sel:DWORD dst_unused:UNUSED_PAD src0_sel:WORD_1 src1_sel:DWORD
	s_waitcnt lgkmcnt(2)
	v_lshrrev_b32_e32 v25, 16, v15
	v_fma_f16 v13, v2, v14, v13
	v_mul_f16_sdwa v14, v2, v14 dst_sel:DWORD dst_unused:UNUSED_PAD src0_sel:WORD_1 src1_sel:DWORD
	v_fma_f16 v2, v2, v24, -v14
	v_mul_f16_sdwa v14, v3, v25 dst_sel:DWORD dst_unused:UNUSED_PAD src0_sel:WORD_1 src1_sel:DWORD
	v_lshrrev_b32_e32 v26, 16, v16
	v_fma_f16 v14, v3, v15, v14
	v_mul_f16_sdwa v15, v3, v15 dst_sel:DWORD dst_unused:UNUSED_PAD src0_sel:WORD_1 src1_sel:DWORD
	v_fma_f16 v3, v3, v25, -v15
	;; [unrolled: 11-line block ×3, first 2 shown]
	v_mul_f16_sdwa v17, v6, v28 dst_sel:DWORD dst_unused:UNUSED_PAD src0_sel:WORD_1 src1_sel:DWORD
	s_waitcnt lgkmcnt(0)
	v_lshrrev_b32_e32 v29, 16, v19
	v_fma_f16 v17, v6, v18, v17
	v_mul_f16_sdwa v18, v6, v18 dst_sel:DWORD dst_unused:UNUSED_PAD src0_sel:WORD_1 src1_sel:DWORD
	v_fma_f16 v6, v6, v28, -v18
	v_mul_f16_sdwa v18, v7, v29 dst_sel:DWORD dst_unused:UNUSED_PAD src0_sel:WORD_1 src1_sel:DWORD
	v_fma_f16 v18, v7, v19, v18
	v_mul_f16_sdwa v19, v7, v19 dst_sel:DWORD dst_unused:UNUSED_PAD src0_sel:WORD_1 src1_sel:DWORD
	v_fma_f16 v7, v7, v29, -v19
	v_add_f16_e32 v23, v14, v16
	v_fma_f16 v23, v23, -0.5, v11
	v_sub_f16_e32 v24, v1, v7
	s_mov_b32 s0, 0xbb9c
	s_movk_i32 s3, 0x3b9c
	v_fma_f16 v25, v24, s0, v23
	v_sub_f16_e32 v26, v3, v5
	s_mov_b32 s1, 0xb8b4
	v_sub_f16_e32 v27, v12, v14
	v_sub_f16_e32 v28, v18, v16
	v_fma_f16 v23, v24, s3, v23
	s_movk_i32 s4, 0x38b4
	v_fma_f16 v25, v26, s1, v25
	v_add_f16_e32 v27, v27, v28
	s_movk_i32 s2, 0x34f2
	v_fma_f16 v23, v26, s4, v23
	v_fma_f16 v25, v27, s2, v25
	;; [unrolled: 1-line block ×3, first 2 shown]
	v_add_f16_e32 v27, v12, v18
	v_lshrrev_b32_e32 v21, 16, v11
	v_add_f16_e32 v22, v11, v12
	v_fma_f16 v11, v27, -0.5, v11
	v_add_f16_e32 v22, v22, v14
	v_fma_f16 v27, v26, s3, v11
	v_fma_f16 v11, v26, s0, v11
	v_add_f16_e32 v26, v3, v5
	v_add_f16_e32 v22, v22, v16
	v_sub_f16_e32 v28, v14, v12
	v_sub_f16_e32 v29, v16, v18
	v_fma_f16 v26, v26, -0.5, v21
	v_sub_f16_e32 v12, v12, v18
	v_add_f16_e32 v22, v22, v18
	v_fma_f16 v27, v24, s1, v27
	v_add_f16_e32 v28, v28, v29
	v_fma_f16 v11, v24, s4, v11
	v_fma_f16 v18, v12, s3, v26
	v_sub_f16_e32 v14, v14, v16
	v_fma_f16 v27, v28, s2, v27
	v_fma_f16 v11, v28, s2, v11
	;; [unrolled: 1-line block ×3, first 2 shown]
	v_sub_f16_e32 v18, v1, v3
	v_sub_f16_e32 v28, v7, v5
	v_fma_f16 v26, v12, s0, v26
	v_lshrrev_b32_e32 v30, 16, v20
	v_add_f16_e32 v24, v21, v1
	v_add_f16_e32 v18, v18, v28
	v_fma_f16 v26, v14, s1, v26
	v_mul_f16_sdwa v19, v50, v30 dst_sel:DWORD dst_unused:UNUSED_PAD src0_sel:WORD_1 src1_sel:DWORD
	v_add_f16_e32 v24, v24, v3
	v_fma_f16 v16, v18, s2, v16
	v_fma_f16 v18, v18, s2, v26
	v_add_f16_e32 v26, v1, v7
	v_fma_f16 v19, v50, v20, v19
	v_mul_f16_sdwa v20, v50, v20 dst_sel:DWORD dst_unused:UNUSED_PAD src0_sel:WORD_1 src1_sel:DWORD
	v_add_f16_e32 v24, v24, v5
	v_fma_f16 v21, v26, -0.5, v21
	v_fma_f16 v20, v50, v30, -v20
	v_add_f16_e32 v24, v24, v7
	v_fma_f16 v26, v14, s0, v21
	v_sub_f16_e32 v1, v3, v1
	v_sub_f16_e32 v3, v5, v7
	v_fma_f16 v5, v14, s3, v21
	v_add_f16_e32 v7, v15, v17
	v_fma_f16 v26, v12, s4, v26
	v_add_f16_e32 v1, v1, v3
	v_fma_f16 v5, v12, s1, v5
	v_fma_f16 v7, v7, -0.5, v43
	v_sub_f16_e32 v12, v2, v20
	v_fma_f16 v3, v1, s2, v26
	v_fma_f16 v14, v12, s0, v7
	v_sub_f16_e32 v21, v4, v6
	v_sub_f16_e32 v26, v13, v15
	;; [unrolled: 1-line block ×3, first 2 shown]
	v_fma_f16 v7, v12, s3, v7
	v_fma_f16 v14, v21, s1, v14
	v_add_f16_e32 v26, v26, v28
	v_fma_f16 v7, v21, s4, v7
	v_fma_f16 v14, v26, s2, v14
	;; [unrolled: 1-line block ×3, first 2 shown]
	v_add_f16_e32 v26, v13, v19
	v_fma_f16 v1, v1, s2, v5
	v_add_f16_e32 v5, v43, v13
	v_fma_f16 v26, v26, -0.5, v43
	v_add_f16_e32 v5, v5, v15
	v_fma_f16 v28, v21, s3, v26
	v_fma_f16 v21, v21, s0, v26
	v_add_f16_e32 v26, v4, v6
	v_add_f16_e32 v5, v5, v17
	v_sub_f16_e32 v29, v15, v13
	v_sub_f16_e32 v30, v17, v19
	v_fma_f16 v26, v26, -0.5, v0
	v_sub_f16_e32 v13, v13, v19
	v_add_f16_e32 v5, v5, v19
	v_fma_f16 v28, v12, s1, v28
	v_add_f16_e32 v29, v29, v30
	v_fma_f16 v12, v12, s4, v21
	v_fma_f16 v19, v13, s3, v26
	v_sub_f16_e32 v15, v15, v17
	v_fma_f16 v28, v29, s2, v28
	v_fma_f16 v12, v29, s2, v12
	;; [unrolled: 1-line block ×3, first 2 shown]
	v_sub_f16_e32 v19, v2, v4
	v_sub_f16_e32 v29, v20, v6
	v_fma_f16 v26, v13, s0, v26
	v_add_f16_e32 v19, v19, v29
	v_fma_f16 v26, v15, s1, v26
	v_fma_f16 v17, v19, s2, v17
	v_fma_f16 v19, v19, s2, v26
	v_add_f16_e32 v26, v2, v20
	v_add_f16_e32 v21, v0, v2
	v_fma_f16 v0, v26, -0.5, v0
	v_add_f16_e32 v21, v21, v4
	v_fma_f16 v26, v15, s0, v0
	v_sub_f16_e32 v2, v4, v2
	v_sub_f16_e32 v4, v6, v20
	v_fma_f16 v0, v15, s3, v0
	v_fma_f16 v26, v13, s4, v26
	v_add_f16_e32 v2, v2, v4
	v_fma_f16 v0, v13, s1, v0
	v_add_f16_e32 v21, v21, v6
	v_fma_f16 v4, v2, s2, v26
	v_fma_f16 v0, v2, s2, v0
	v_mul_f16_e32 v6, 0xb8b4, v17
	s_movk_i32 s0, 0x3a79
	v_mul_f16_e32 v17, 0x3a79, v17
	v_add_f16_e32 v21, v21, v20
	v_fma_f16 v6, v14, s0, v6
	v_mul_f16_e32 v15, 0xbb9c, v4
	v_mul_f16_e32 v26, 0xbb9c, v0
	s_mov_b32 s0, 0xb4f2
	v_fma_f16 v14, v14, s4, v17
	v_mul_f16_e32 v4, 0x34f2, v4
	v_mul_f16_e32 v0, 0xb4f2, v0
	v_add_f16_e32 v2, v22, v5
	v_add_f16_e32 v13, v25, v6
	v_fma_f16 v15, v28, s2, v15
	v_fma_f16 v26, v12, s0, v26
	v_mul_f16_e32 v30, 0xb8b4, v19
	s_mov_b32 s0, 0xba79
	v_add_f16_e32 v44, v24, v21
	v_add_f16_e32 v17, v16, v14
	v_fma_f16 v4, v28, s3, v4
	v_fma_f16 v0, v12, s3, v0
	v_mul_f16_e32 v19, 0xba79, v19
	v_add_f16_e32 v20, v27, v15
	v_add_f16_e32 v29, v11, v26
	v_fma_f16 v30, v7, s0, v30
	v_add_f16_e32 v28, v3, v4
	v_add_f16_e32 v12, v1, v0
	v_fma_f16 v7, v7, s4, v19
	v_sub_f16_e32 v3, v3, v4
	v_pack_b32_f16 v2, v2, v44
	v_pack_b32_f16 v4, v13, v17
	v_add_f16_e32 v43, v23, v30
	v_add_f16_e32 v19, v18, v7
	v_sub_f16_e32 v5, v22, v5
	v_sub_f16_e32 v21, v24, v21
	ds_write2_b32 v31, v2, v4 offset1:9
	v_pack_b32_f16 v2, v20, v28
	v_pack_b32_f16 v4, v29, v12
	v_sub_f16_e32 v6, v25, v6
	v_sub_f16_e32 v15, v27, v15
	;; [unrolled: 1-line block ×7, first 2 shown]
	ds_write2_b32 v31, v2, v4 offset0:18 offset1:27
	v_pack_b32_f16 v2, v43, v19
	v_pack_b32_f16 v4, v5, v21
	ds_write2_b32 v31, v2, v4 offset0:36 offset1:45
	v_pack_b32_f16 v2, v6, v14
	v_pack_b32_f16 v3, v15, v3
	;; [unrolled: 1-line block ×4, first 2 shown]
	ds_write2_b32 v31, v2, v3 offset0:54 offset1:63
	ds_write2_b32 v31, v0, v1 offset0:72 offset1:81
	s_waitcnt lgkmcnt(0)
	; wave barrier
	s_waitcnt lgkmcnt(0)
	ds_read2_b32 v[4:5], v31 offset1:9
	s_mov_b32 s12, 0x16c16c17
	s_mov_b32 s13, 0x3f86c16c
	v_mad_u64_u32 v[6:7], s[0:1], s10, v10, 0
	s_waitcnt lgkmcnt(0)
	v_lshrrev_b32_e32 v11, 16, v4
	v_mul_f16_sdwa v0, v42, v11 dst_sel:DWORD dst_unused:UNUSED_PAD src0_sel:WORD_1 src1_sel:DWORD
	v_fma_f16 v0, v42, v4, v0
	v_cvt_f32_f16_e32 v0, v0
	v_mov_b32_e32 v2, v7
	v_mad_u64_u32 v[2:3], s[0:1], s11, v10, v[2:3]
	v_cvt_f64_f32_e32 v[0:1], v0
	s_movk_i32 s10, 0x1ff
	v_mov_b32_e32 v7, v2
	s_movk_i32 s11, 0xffe
	v_mul_f64 v[0:1], v[0:1], s[12:13]
	s_movk_i32 s14, 0x40f
	s_mov_b32 s15, 0x8000
	v_lshlrev_b64 v[6:7], 2, v[6:7]
	v_mov_b32_e32 v16, s7
	v_and_or_b32 v0, v1, s10, v0
	v_cmp_ne_u32_e64 s[0:1], 0, v0
	v_cndmask_b32_e64 v0, 0, 1, s[0:1]
	v_lshrrev_b32_e32 v2, 8, v1
	v_bfe_u32 v3, v1, 20, 11
	v_and_or_b32 v0, v2, s11, v0
	v_sub_u32_e32 v10, 0x3f1, v3
	v_or_b32_e32 v2, 0x1000, v0
	v_med3_i32 v10, v10, 0, 13
	v_lshrrev_b32_e32 v12, v10, v2
	v_lshlrev_b32_e32 v10, v10, v12
	v_cmp_ne_u32_e64 s[0:1], v10, v2
	v_cndmask_b32_e64 v2, 0, 1, s[0:1]
	v_add_u32_e32 v10, 0xfffffc10, v3
	v_or_b32_e32 v2, v12, v2
	v_lshl_or_b32 v3, v10, 12, v0
	v_cmp_gt_i32_e64 s[0:1], 1, v10
	v_cndmask_b32_e64 v2, v3, v2, s[0:1]
	v_and_b32_e32 v3, 7, v2
	v_cmp_lt_i32_e64 s[0:1], 5, v3
	v_cmp_eq_u32_e64 s[2:3], 3, v3
	v_mul_f16_sdwa v3, v42, v4 dst_sel:DWORD dst_unused:UNUSED_PAD src0_sel:WORD_1 src1_sel:DWORD
	v_fma_f16 v3, v42, v11, -v3
	v_cvt_f32_f16_e32 v3, v3
	v_lshrrev_b32_e32 v2, 2, v2
	s_or_b64 s[0:1], s[2:3], s[0:1]
	v_addc_co_u32_e64 v11, s[0:1], 0, v2, s[0:1]
	v_cvt_f64_f32_e32 v[3:4], v3
	v_mov_b32_e32 v2, 0x7c00
	v_cmp_gt_i32_e64 s[0:1], 31, v10
	v_cndmask_b32_e64 v11, v2, v11, s[0:1]
	v_mul_f64 v[3:4], v[3:4], s[12:13]
	v_cmp_ne_u32_e64 s[0:1], 0, v0
	v_cndmask_b32_e64 v0, 0, 1, s[0:1]
	v_lshl_or_b32 v0, v0, 9, v2
	v_cmp_eq_u32_e64 s[0:1], s14, v10
	v_cndmask_b32_e64 v0, v11, v0, s[0:1]
	v_lshrrev_b32_e32 v1, 16, v1
	v_and_or_b32 v12, v1, s15, v0
	v_and_or_b32 v0, v4, s10, v3
	v_cmp_ne_u32_e64 s[0:1], 0, v0
	v_cndmask_b32_e64 v0, 0, 1, s[0:1]
	v_lshrrev_b32_e32 v1, 8, v4
	v_bfe_u32 v3, v4, 20, 11
	v_and_or_b32 v0, v1, s11, v0
	v_sub_u32_e32 v10, 0x3f1, v3
	v_or_b32_e32 v1, 0x1000, v0
	v_med3_i32 v10, v10, 0, 13
	v_lshrrev_b32_e32 v11, v10, v1
	v_lshlrev_b32_e32 v10, v10, v11
	v_cmp_ne_u32_e64 s[0:1], v10, v1
	v_cndmask_b32_e64 v1, 0, 1, s[0:1]
	v_add_u32_e32 v3, 0xfffffc10, v3
	v_or_b32_e32 v1, v11, v1
	v_lshl_or_b32 v10, v3, 12, v0
	v_cmp_gt_i32_e64 s[0:1], 1, v3
	v_cndmask_b32_e64 v1, v10, v1, s[0:1]
	v_and_b32_e32 v10, 7, v1
	v_cmp_lt_i32_e64 s[0:1], 5, v10
	v_cmp_eq_u32_e64 s[2:3], 3, v10
	v_lshrrev_b32_e32 v1, 2, v1
	s_or_b64 s[0:1], s[2:3], s[0:1]
	v_addc_co_u32_e64 v1, s[0:1], 0, v1, s[0:1]
	v_cmp_gt_i32_e64 s[0:1], 31, v3
	v_cndmask_b32_e64 v1, v2, v1, s[0:1]
	v_cmp_ne_u32_e64 s[0:1], 0, v0
	v_cndmask_b32_e64 v0, 0, 1, s[0:1]
	v_mad_u64_u32 v[10:11], s[0:1], s8, v40, 0
	v_lshl_or_b32 v0, v0, 9, v2
	v_cmp_eq_u32_e64 s[0:1], s14, v3
	v_cndmask_b32_e64 v13, v1, v0, s[0:1]
	ds_read2_b32 v[0:1], v31 offset0:18 offset1:30
	v_mov_b32_e32 v3, v11
	v_lshrrev_b32_e32 v14, 16, v4
	v_mad_u64_u32 v[3:4], s[0:1], s9, v40, v[3:4]
	s_waitcnt lgkmcnt(0)
	v_lshrrev_b32_e32 v15, 16, v1
	v_mul_f16_sdwa v4, v41, v15 dst_sel:DWORD dst_unused:UNUSED_PAD src0_sel:WORD_1 src1_sel:DWORD
	v_fma_f16 v4, v41, v1, v4
	v_cvt_f32_f16_e32 v4, v4
	v_mov_b32_e32 v11, v3
	v_and_or_b32 v13, v14, s15, v13
	v_and_b32_e32 v12, 0xffff, v12
	v_cvt_f64_f32_e32 v[3:4], v4
	v_lshl_or_b32 v14, v13, 16, v12
	v_mul_f16_sdwa v1, v41, v1 dst_sel:DWORD dst_unused:UNUSED_PAD src0_sel:WORD_1 src1_sel:DWORD
	v_fma_f16 v1, v41, v15, -v1
	v_mul_f64 v[12:13], v[3:4], s[12:13]
	v_add_co_u32_e64 v3, s[0:1], s6, v6
	v_addc_co_u32_e64 v4, s[0:1], v16, v7, s[0:1]
	v_lshlrev_b64 v[6:7], 2, v[10:11]
	v_cvt_f32_f16_e32 v1, v1
	v_add_co_u32_e64 v6, s[0:1], v3, v6
	v_addc_co_u32_e64 v7, s[0:1], v4, v7, s[0:1]
	v_and_or_b32 v10, v13, s10, v12
	v_cmp_ne_u32_e64 s[0:1], 0, v10
	v_cndmask_b32_e64 v10, 0, 1, s[0:1]
	v_lshrrev_b32_e32 v11, 8, v13
	v_and_or_b32 v12, v11, s11, v10
	v_bfe_u32 v11, v13, 20, 11
	global_store_dword v[6:7], v14, off
	v_sub_u32_e32 v14, 0x3f1, v11
	v_or_b32_e32 v10, 0x1000, v12
	v_med3_i32 v14, v14, 0, 13
	v_lshrrev_b32_e32 v16, v14, v10
	v_lshlrev_b32_e32 v14, v14, v16
	v_cmp_ne_u32_e64 s[0:1], v14, v10
	v_cndmask_b32_e64 v10, 0, 1, s[0:1]
	v_add_u32_e32 v14, 0xfffffc10, v11
	v_or_b32_e32 v10, v16, v10
	v_lshl_or_b32 v11, v14, 12, v12
	v_cmp_gt_i32_e64 s[0:1], 1, v14
	v_cndmask_b32_e64 v10, v11, v10, s[0:1]
	v_and_b32_e32 v11, 7, v10
	v_cmp_lt_i32_e64 s[0:1], 5, v11
	v_cmp_eq_u32_e64 s[2:3], 3, v11
	v_lshrrev_b32_e32 v15, 2, v10
	v_cvt_f64_f32_e32 v[10:11], v1
	s_or_b64 s[0:1], s[2:3], s[0:1]
	v_addc_co_u32_e64 v1, s[0:1], 0, v15, s[0:1]
	v_mul_f64 v[10:11], v[10:11], s[12:13]
	v_cmp_gt_i32_e64 s[0:1], 31, v14
	v_cndmask_b32_e64 v1, v2, v1, s[0:1]
	v_cmp_ne_u32_e64 s[0:1], 0, v12
	v_cndmask_b32_e64 v12, 0, 1, s[0:1]
	v_lshl_or_b32 v12, v12, 9, v2
	v_cmp_eq_u32_e64 s[0:1], s14, v14
	v_cndmask_b32_e64 v1, v1, v12, s[0:1]
	v_and_or_b32 v10, v11, s10, v10
	v_lshrrev_b32_e32 v12, 16, v13
	v_cmp_ne_u32_e64 s[0:1], 0, v10
	v_and_or_b32 v1, v12, s15, v1
	v_cndmask_b32_e64 v10, 0, 1, s[0:1]
	v_lshrrev_b32_e32 v12, 8, v11
	v_bfe_u32 v13, v11, 20, 11
	v_and_or_b32 v10, v12, s11, v10
	v_sub_u32_e32 v14, 0x3f1, v13
	v_or_b32_e32 v12, 0x1000, v10
	v_med3_i32 v14, v14, 0, 13
	v_lshrrev_b32_e32 v15, v14, v12
	v_lshlrev_b32_e32 v14, v14, v15
	v_cmp_ne_u32_e64 s[0:1], v14, v12
	v_cndmask_b32_e64 v12, 0, 1, s[0:1]
	v_add_u32_e32 v14, 0xfffffc10, v13
	v_or_b32_e32 v12, v15, v12
	v_lshl_or_b32 v13, v14, 12, v10
	v_cmp_gt_i32_e64 s[0:1], 1, v14
	v_cndmask_b32_e64 v12, v13, v12, s[0:1]
	v_and_b32_e32 v13, 7, v12
	v_cmp_lt_i32_e64 s[0:1], 5, v13
	v_cmp_eq_u32_e64 s[2:3], 3, v13
	v_lshrrev_b32_e32 v12, 2, v12
	s_or_b64 s[0:1], s[2:3], s[0:1]
	v_addc_co_u32_e64 v12, s[0:1], 0, v12, s[0:1]
	v_cmp_gt_i32_e64 s[0:1], 31, v14
	v_cndmask_b32_e64 v15, v2, v12, s[0:1]
	ds_read2_b32 v[12:13], v31 offset0:60 offset1:69
	v_cmp_ne_u32_e64 s[0:1], 0, v10
	v_cndmask_b32_e64 v10, 0, 1, s[0:1]
	v_lshl_or_b32 v10, v10, 9, v2
	v_cmp_eq_u32_e64 s[0:1], s14, v14
	v_cndmask_b32_e64 v10, v15, v10, s[0:1]
	v_lshrrev_b32_e32 v11, 16, v11
	s_waitcnt lgkmcnt(0)
	v_lshrrev_b32_e32 v15, 16, v12
	v_and_or_b32 v14, v11, s15, v10
	v_mul_f16_sdwa v10, v39, v15 dst_sel:DWORD dst_unused:UNUSED_PAD src0_sel:WORD_1 src1_sel:DWORD
	v_fma_f16 v10, v39, v12, v10
	v_cvt_f32_f16_e32 v10, v10
	s_mul_i32 s0, s9, 30
	s_mul_hi_u32 s1, s8, 30
	s_add_i32 s1, s1, s0
	v_cvt_f64_f32_e32 v[10:11], v10
	s_mul_i32 s0, s8, 30
	s_lshl_b64 s[6:7], s[0:1], 2
	v_and_b32_e32 v1, 0xffff, v1
	v_mul_f64 v[10:11], v[10:11], s[12:13]
	v_mov_b32_e32 v18, s7
	v_add_co_u32_e64 v6, s[0:1], s6, v6
	v_lshl_or_b32 v1, v14, 16, v1
	v_addc_co_u32_e64 v7, s[0:1], v7, v18, s[0:1]
	global_store_dword v[6:7], v1, off
	v_and_or_b32 v1, v11, s10, v10
	v_cmp_ne_u32_e64 s[0:1], 0, v1
	v_cndmask_b32_e64 v1, 0, 1, s[0:1]
	v_lshrrev_b32_e32 v10, 8, v11
	v_bfe_u32 v14, v11, 20, 11
	v_and_or_b32 v1, v10, s11, v1
	v_sub_u32_e32 v16, 0x3f1, v14
	v_or_b32_e32 v10, 0x1000, v1
	v_med3_i32 v16, v16, 0, 13
	v_lshrrev_b32_e32 v17, v16, v10
	v_lshlrev_b32_e32 v16, v16, v17
	v_mul_f16_sdwa v12, v39, v12 dst_sel:DWORD dst_unused:UNUSED_PAD src0_sel:WORD_1 src1_sel:DWORD
	v_cmp_ne_u32_e64 s[0:1], v16, v10
	v_fma_f16 v12, v39, v15, -v12
	v_cndmask_b32_e64 v10, 0, 1, s[0:1]
	v_add_u32_e32 v16, 0xfffffc10, v14
	v_cvt_f32_f16_e32 v12, v12
	v_or_b32_e32 v10, v17, v10
	v_lshl_or_b32 v14, v16, 12, v1
	v_cmp_gt_i32_e64 s[0:1], 1, v16
	v_cndmask_b32_e64 v10, v14, v10, s[0:1]
	v_and_b32_e32 v14, 7, v10
	v_cmp_lt_i32_e64 s[0:1], 5, v14
	v_cmp_eq_u32_e64 s[2:3], 3, v14
	v_cvt_f64_f32_e32 v[14:15], v12
	v_lshrrev_b32_e32 v10, 2, v10
	s_or_b64 s[0:1], s[2:3], s[0:1]
	v_addc_co_u32_e64 v10, s[0:1], 0, v10, s[0:1]
	v_mul_f64 v[14:15], v[14:15], s[12:13]
	v_cmp_gt_i32_e64 s[0:1], 31, v16
	v_cndmask_b32_e64 v10, v2, v10, s[0:1]
	v_cmp_ne_u32_e64 s[0:1], 0, v1
	v_cndmask_b32_e64 v1, 0, 1, s[0:1]
	v_lshl_or_b32 v1, v1, 9, v2
	v_cmp_eq_u32_e64 s[0:1], s14, v16
	v_cndmask_b32_e64 v1, v10, v1, s[0:1]
	v_lshrrev_b32_e32 v10, 16, v11
	v_and_or_b32 v1, v10, s15, v1
	v_and_or_b32 v10, v15, s10, v14
	v_cmp_ne_u32_e64 s[0:1], 0, v10
	v_cndmask_b32_e64 v10, 0, 1, s[0:1]
	v_lshrrev_b32_e32 v11, 8, v15
	v_bfe_u32 v12, v15, 20, 11
	v_and_or_b32 v10, v11, s11, v10
	v_sub_u32_e32 v14, 0x3f1, v12
	v_or_b32_e32 v11, 0x1000, v10
	v_med3_i32 v14, v14, 0, 13
	v_lshrrev_b32_e32 v16, v14, v11
	v_lshlrev_b32_e32 v14, v14, v16
	v_cmp_ne_u32_e64 s[0:1], v14, v11
	v_cndmask_b32_e64 v11, 0, 1, s[0:1]
	v_add_u32_e32 v12, 0xfffffc10, v12
	v_or_b32_e32 v11, v16, v11
	v_lshl_or_b32 v14, v12, 12, v10
	v_cmp_gt_i32_e64 s[0:1], 1, v12
	v_cndmask_b32_e64 v11, v14, v11, s[0:1]
	v_and_b32_e32 v14, 7, v11
	v_cmp_lt_i32_e64 s[0:1], 5, v14
	v_cmp_eq_u32_e64 s[2:3], 3, v14
	v_lshrrev_b32_e32 v11, 2, v11
	s_or_b64 s[0:1], s[2:3], s[0:1]
	v_addc_co_u32_e64 v11, s[0:1], 0, v11, s[0:1]
	v_cmp_gt_i32_e64 s[0:1], 31, v12
	v_lshrrev_b32_e32 v16, 16, v5
	v_cndmask_b32_e64 v14, v2, v11, s[0:1]
	v_mul_f16_sdwa v11, v38, v16 dst_sel:DWORD dst_unused:UNUSED_PAD src0_sel:WORD_1 src1_sel:DWORD
	v_fma_f16 v11, v38, v5, v11
	v_cvt_f32_f16_e32 v11, v11
	v_cmp_ne_u32_e64 s[0:1], 0, v10
	v_cndmask_b32_e64 v10, 0, 1, s[0:1]
	v_lshl_or_b32 v17, v10, 9, v2
	v_cvt_f64_f32_e32 v[10:11], v11
	v_cmp_eq_u32_e64 s[0:1], s14, v12
	v_cndmask_b32_e64 v12, v14, v17, s[0:1]
	v_lshrrev_b32_e32 v14, 16, v15
	v_mul_f64 v[10:11], v[10:11], s[12:13]
	v_and_or_b32 v12, v14, s15, v12
	v_and_b32_e32 v1, 0xffff, v1
	v_add_co_u32_e64 v6, s[0:1], s6, v6
	v_lshl_or_b32 v1, v12, 16, v1
	v_addc_co_u32_e64 v7, s[0:1], v7, v18, s[0:1]
	global_store_dword v[6:7], v1, off
	v_and_or_b32 v1, v11, s10, v10
	v_cmp_ne_u32_e64 s[0:1], 0, v1
	v_cndmask_b32_e64 v1, 0, 1, s[0:1]
	v_lshrrev_b32_e32 v10, 8, v11
	v_bfe_u32 v12, v11, 20, 11
	v_and_or_b32 v1, v10, s11, v1
	v_sub_u32_e32 v14, 0x3f1, v12
	v_or_b32_e32 v10, 0x1000, v1
	v_med3_i32 v14, v14, 0, 13
	v_lshrrev_b32_e32 v15, v14, v10
	v_lshlrev_b32_e32 v14, v14, v15
	v_mul_f16_sdwa v5, v38, v5 dst_sel:DWORD dst_unused:UNUSED_PAD src0_sel:WORD_1 src1_sel:DWORD
	v_cmp_ne_u32_e64 s[0:1], v14, v10
	v_fma_f16 v5, v38, v16, -v5
	v_cndmask_b32_e64 v10, 0, 1, s[0:1]
	v_add_u32_e32 v12, 0xfffffc10, v12
	v_cvt_f32_f16_e32 v5, v5
	v_or_b32_e32 v10, v15, v10
	v_lshl_or_b32 v14, v12, 12, v1
	v_cmp_gt_i32_e64 s[0:1], 1, v12
	v_cndmask_b32_e64 v10, v14, v10, s[0:1]
	v_and_b32_e32 v14, 7, v10
	v_cmp_lt_i32_e64 s[0:1], 5, v14
	v_cmp_eq_u32_e64 s[2:3], 3, v14
	v_cvt_f64_f32_e32 v[14:15], v5
	v_lshrrev_b32_e32 v10, 2, v10
	s_or_b64 s[0:1], s[2:3], s[0:1]
	v_addc_co_u32_e64 v5, s[0:1], 0, v10, s[0:1]
	v_mul_f64 v[14:15], v[14:15], s[12:13]
	v_cmp_gt_i32_e64 s[0:1], 31, v12
	v_cndmask_b32_e64 v5, v2, v5, s[0:1]
	v_cmp_ne_u32_e64 s[0:1], 0, v1
	v_cndmask_b32_e64 v1, 0, 1, s[0:1]
	v_lshl_or_b32 v1, v1, 9, v2
	v_cmp_eq_u32_e64 s[0:1], s14, v12
	v_cndmask_b32_e64 v1, v5, v1, s[0:1]
	v_lshrrev_b32_e32 v5, 16, v11
	v_and_or_b32 v1, v5, s15, v1
	v_and_or_b32 v5, v15, s10, v14
	v_cmp_ne_u32_e64 s[0:1], 0, v5
	v_cndmask_b32_e64 v5, 0, 1, s[0:1]
	v_lshrrev_b32_e32 v10, 8, v15
	v_bfe_u32 v11, v15, 20, 11
	v_and_or_b32 v5, v10, s11, v5
	v_sub_u32_e32 v12, 0x3f1, v11
	v_or_b32_e32 v10, 0x1000, v5
	v_med3_i32 v12, v12, 0, 13
	v_lshrrev_b32_e32 v14, v12, v10
	v_lshlrev_b32_e32 v12, v12, v14
	v_cmp_ne_u32_e64 s[0:1], v12, v10
	v_cndmask_b32_e64 v10, 0, 1, s[0:1]
	v_add_u32_e32 v12, 0xfffffc10, v11
	v_or_b32_e32 v10, v14, v10
	v_lshl_or_b32 v11, v12, 12, v5
	v_cmp_gt_i32_e64 s[0:1], 1, v12
	v_cndmask_b32_e64 v10, v11, v10, s[0:1]
	v_and_b32_e32 v11, 7, v10
	v_cmp_lt_i32_e64 s[0:1], 5, v11
	v_cmp_eq_u32_e64 s[2:3], 3, v11
	v_lshrrev_b32_e32 v10, 2, v10
	s_or_b64 s[0:1], s[2:3], s[0:1]
	v_addc_co_u32_e64 v10, s[0:1], 0, v10, s[0:1]
	v_cmp_gt_i32_e64 s[0:1], 31, v12
	v_cndmask_b32_e64 v14, v2, v10, s[0:1]
	ds_read2_b32 v[10:11], v31 offset0:39 offset1:48
	v_cmp_ne_u32_e64 s[0:1], 0, v5
	v_cndmask_b32_e64 v5, 0, 1, s[0:1]
	v_lshl_or_b32 v5, v5, 9, v2
	v_cmp_eq_u32_e64 s[0:1], s14, v12
	v_cndmask_b32_e64 v5, v14, v5, s[0:1]
	v_lshrrev_b32_e32 v12, 16, v15
	v_and_or_b32 v5, v12, s15, v5
	s_waitcnt lgkmcnt(0)
	v_lshrrev_b32_e32 v12, 16, v10
	v_mul_f16_sdwa v14, v37, v12 dst_sel:DWORD dst_unused:UNUSED_PAD src0_sel:WORD_1 src1_sel:DWORD
	v_fma_f16 v14, v37, v10, v14
	v_cvt_f32_f16_e32 v14, v14
	s_mul_hi_u32 s1, s8, 0xffffffcd
	s_mul_i32 s0, s9, 0xffffffcd
	s_sub_i32 s1, s1, s8
	v_cvt_f64_f32_e32 v[14:15], v14
	s_add_i32 s1, s1, s0
	s_mul_i32 s0, s8, 0xffffffcd
	v_and_b32_e32 v1, 0xffff, v1
	v_mul_f64 v[14:15], v[14:15], s[12:13]
	s_lshl_b64 s[4:5], s[0:1], 2
	v_lshl_or_b32 v1, v5, 16, v1
	v_mov_b32_e32 v19, s5
	v_add_co_u32_e64 v5, s[0:1], s4, v6
	v_addc_co_u32_e64 v6, s[0:1], v7, v19, s[0:1]
	global_store_dword v[5:6], v1, off
	v_and_or_b32 v1, v15, s10, v14
	v_cmp_ne_u32_e64 s[0:1], 0, v1
	v_cndmask_b32_e64 v1, 0, 1, s[0:1]
	v_lshrrev_b32_e32 v7, 8, v15
	v_bfe_u32 v14, v15, 20, 11
	v_and_or_b32 v1, v7, s11, v1
	v_sub_u32_e32 v16, 0x3f1, v14
	v_or_b32_e32 v7, 0x1000, v1
	v_med3_i32 v16, v16, 0, 13
	v_lshrrev_b32_e32 v17, v16, v7
	v_lshlrev_b32_e32 v16, v16, v17
	v_mul_f16_sdwa v10, v37, v10 dst_sel:DWORD dst_unused:UNUSED_PAD src0_sel:WORD_1 src1_sel:DWORD
	v_cmp_ne_u32_e64 s[0:1], v16, v7
	v_fma_f16 v10, v37, v12, -v10
	v_cndmask_b32_e64 v7, 0, 1, s[0:1]
	v_add_u32_e32 v14, 0xfffffc10, v14
	v_cvt_f32_f16_e32 v10, v10
	v_or_b32_e32 v7, v17, v7
	v_lshl_or_b32 v16, v14, 12, v1
	v_cmp_gt_i32_e64 s[0:1], 1, v14
	v_cndmask_b32_e64 v7, v16, v7, s[0:1]
	v_and_b32_e32 v16, 7, v7
	v_cmp_lt_i32_e64 s[0:1], 5, v16
	v_cmp_eq_u32_e64 s[2:3], 3, v16
	v_cvt_f64_f32_e32 v[16:17], v10
	v_lshrrev_b32_e32 v7, 2, v7
	s_or_b64 s[0:1], s[2:3], s[0:1]
	v_addc_co_u32_e64 v7, s[0:1], 0, v7, s[0:1]
	v_mul_f64 v[16:17], v[16:17], s[12:13]
	v_cmp_gt_i32_e64 s[0:1], 31, v14
	v_cndmask_b32_e64 v7, v2, v7, s[0:1]
	v_cmp_ne_u32_e64 s[0:1], 0, v1
	v_cndmask_b32_e64 v1, 0, 1, s[0:1]
	v_lshl_or_b32 v1, v1, 9, v2
	v_cmp_eq_u32_e64 s[0:1], s14, v14
	v_cndmask_b32_e64 v1, v7, v1, s[0:1]
	v_lshrrev_b32_e32 v7, 16, v15
	v_and_or_b32 v1, v7, s15, v1
	v_and_or_b32 v7, v17, s10, v16
	v_cmp_ne_u32_e64 s[0:1], 0, v7
	v_cndmask_b32_e64 v7, 0, 1, s[0:1]
	v_lshrrev_b32_e32 v10, 8, v17
	v_bfe_u32 v12, v17, 20, 11
	v_and_or_b32 v7, v10, s11, v7
	v_sub_u32_e32 v14, 0x3f1, v12
	v_or_b32_e32 v10, 0x1000, v7
	v_med3_i32 v14, v14, 0, 13
	v_lshrrev_b32_e32 v15, v14, v10
	v_lshlrev_b32_e32 v14, v14, v15
	v_cmp_ne_u32_e64 s[0:1], v14, v10
	v_cndmask_b32_e64 v10, 0, 1, s[0:1]
	v_add_u32_e32 v12, 0xfffffc10, v12
	v_or_b32_e32 v10, v15, v10
	v_lshl_or_b32 v14, v12, 12, v7
	v_cmp_gt_i32_e64 s[0:1], 1, v12
	v_cndmask_b32_e64 v10, v14, v10, s[0:1]
	v_and_b32_e32 v14, 7, v10
	v_lshrrev_b32_e32 v16, 16, v13
	v_cmp_lt_i32_e64 s[0:1], 5, v14
	v_cmp_eq_u32_e64 s[2:3], 3, v14
	v_mul_f16_sdwa v14, v36, v16 dst_sel:DWORD dst_unused:UNUSED_PAD src0_sel:WORD_1 src1_sel:DWORD
	v_fma_f16 v14, v36, v13, v14
	v_cvt_f32_f16_e32 v14, v14
	v_lshrrev_b32_e32 v10, 2, v10
	s_or_b64 s[0:1], s[2:3], s[0:1]
	v_addc_co_u32_e64 v10, s[0:1], 0, v10, s[0:1]
	v_cvt_f64_f32_e32 v[14:15], v14
	v_cmp_gt_i32_e64 s[0:1], 31, v12
	v_cndmask_b32_e64 v10, v2, v10, s[0:1]
	v_cmp_ne_u32_e64 s[0:1], 0, v7
	v_mul_f64 v[14:15], v[14:15], s[12:13]
	v_cndmask_b32_e64 v7, 0, 1, s[0:1]
	v_lshl_or_b32 v7, v7, 9, v2
	v_cmp_eq_u32_e64 s[0:1], s14, v12
	v_cndmask_b32_e64 v7, v10, v7, s[0:1]
	v_lshrrev_b32_e32 v10, 16, v17
	v_and_or_b32 v7, v10, s15, v7
	v_and_b32_e32 v1, 0xffff, v1
	v_add_co_u32_e64 v5, s[0:1], s6, v5
	v_lshl_or_b32 v1, v7, 16, v1
	v_addc_co_u32_e64 v6, s[0:1], v6, v18, s[0:1]
	global_store_dword v[5:6], v1, off
	v_and_or_b32 v1, v15, s10, v14
	v_cmp_ne_u32_e64 s[0:1], 0, v1
	v_cndmask_b32_e64 v1, 0, 1, s[0:1]
	v_lshrrev_b32_e32 v7, 8, v15
	v_bfe_u32 v10, v15, 20, 11
	v_and_or_b32 v1, v7, s11, v1
	v_sub_u32_e32 v12, 0x3f1, v10
	v_or_b32_e32 v7, 0x1000, v1
	v_med3_i32 v12, v12, 0, 13
	v_lshrrev_b32_e32 v14, v12, v7
	v_lshlrev_b32_e32 v12, v12, v14
	v_mul_f16_sdwa v13, v36, v13 dst_sel:DWORD dst_unused:UNUSED_PAD src0_sel:WORD_1 src1_sel:DWORD
	v_cmp_ne_u32_e64 s[0:1], v12, v7
	v_fma_f16 v13, v36, v16, -v13
	v_cndmask_b32_e64 v7, 0, 1, s[0:1]
	v_add_u32_e32 v10, 0xfffffc10, v10
	v_cvt_f32_f16_e32 v13, v13
	v_or_b32_e32 v7, v14, v7
	v_lshl_or_b32 v12, v10, 12, v1
	v_cmp_gt_i32_e64 s[0:1], 1, v10
	v_cndmask_b32_e64 v7, v12, v7, s[0:1]
	v_and_b32_e32 v12, 7, v7
	v_cmp_lt_i32_e64 s[0:1], 5, v12
	v_cmp_eq_u32_e64 s[2:3], 3, v12
	v_cvt_f64_f32_e32 v[12:13], v13
	v_lshrrev_b32_e32 v7, 2, v7
	s_or_b64 s[0:1], s[2:3], s[0:1]
	v_addc_co_u32_e64 v7, s[0:1], 0, v7, s[0:1]
	v_mul_f64 v[12:13], v[12:13], s[12:13]
	v_cmp_gt_i32_e64 s[0:1], 31, v10
	v_cndmask_b32_e64 v7, v2, v7, s[0:1]
	v_cmp_ne_u32_e64 s[0:1], 0, v1
	v_cndmask_b32_e64 v1, 0, 1, s[0:1]
	v_lshl_or_b32 v1, v1, 9, v2
	v_cmp_eq_u32_e64 s[0:1], s14, v10
	v_cndmask_b32_e64 v1, v7, v1, s[0:1]
	v_lshrrev_b32_e32 v7, 16, v15
	v_and_or_b32 v1, v7, s15, v1
	v_and_or_b32 v7, v13, s10, v12
	v_cmp_ne_u32_e64 s[0:1], 0, v7
	v_cndmask_b32_e64 v7, 0, 1, s[0:1]
	v_lshrrev_b32_e32 v10, 8, v13
	v_bfe_u32 v12, v13, 20, 11
	v_and_or_b32 v7, v10, s11, v7
	v_sub_u32_e32 v14, 0x3f1, v12
	v_or_b32_e32 v10, 0x1000, v7
	v_med3_i32 v14, v14, 0, 13
	v_lshrrev_b32_e32 v15, v14, v10
	v_lshlrev_b32_e32 v14, v14, v15
	v_cmp_ne_u32_e64 s[0:1], v14, v10
	v_cndmask_b32_e64 v10, 0, 1, s[0:1]
	v_add_u32_e32 v12, 0xfffffc10, v12
	v_or_b32_e32 v10, v15, v10
	v_lshl_or_b32 v14, v12, 12, v7
	v_cmp_gt_i32_e64 s[0:1], 1, v12
	v_cndmask_b32_e64 v10, v14, v10, s[0:1]
	v_and_b32_e32 v14, 7, v10
	v_lshrrev_b32_e32 v16, 16, v0
	v_cmp_lt_i32_e64 s[0:1], 5, v14
	v_cmp_eq_u32_e64 s[2:3], 3, v14
	v_mul_f16_sdwa v14, v35, v16 dst_sel:DWORD dst_unused:UNUSED_PAD src0_sel:WORD_1 src1_sel:DWORD
	v_fma_f16 v14, v35, v0, v14
	v_cvt_f32_f16_e32 v14, v14
	v_lshrrev_b32_e32 v10, 2, v10
	s_or_b64 s[0:1], s[2:3], s[0:1]
	v_addc_co_u32_e64 v10, s[0:1], 0, v10, s[0:1]
	v_cmp_gt_i32_e64 s[0:1], 31, v12
	v_cvt_f64_f32_e32 v[14:15], v14
	v_cndmask_b32_e64 v10, v2, v10, s[0:1]
	v_cmp_ne_u32_e64 s[0:1], 0, v7
	v_cndmask_b32_e64 v7, 0, 1, s[0:1]
	v_lshl_or_b32 v7, v7, 9, v2
	v_cmp_eq_u32_e64 s[0:1], s14, v12
	v_cndmask_b32_e64 v7, v10, v7, s[0:1]
	v_lshrrev_b32_e32 v10, 16, v13
	v_mul_f64 v[12:13], v[14:15], s[12:13]
	v_and_or_b32 v7, v10, s15, v7
	v_and_b32_e32 v1, 0xffff, v1
	v_add_co_u32_e64 v5, s[0:1], s6, v5
	v_lshl_or_b32 v1, v7, 16, v1
	v_addc_co_u32_e64 v6, s[0:1], v6, v18, s[0:1]
	global_store_dword v[5:6], v1, off
	v_and_or_b32 v1, v13, s10, v12
	v_cmp_ne_u32_e64 s[0:1], 0, v1
	v_cndmask_b32_e64 v1, 0, 1, s[0:1]
	v_lshrrev_b32_e32 v7, 8, v13
	v_bfe_u32 v10, v13, 20, 11
	v_and_or_b32 v7, v7, s11, v1
	v_sub_u32_e32 v12, 0x3f1, v10
	v_or_b32_e32 v1, 0x1000, v7
	v_med3_i32 v12, v12, 0, 13
	v_lshrrev_b32_e32 v14, v12, v1
	v_lshlrev_b32_e32 v12, v12, v14
	v_mul_f16_sdwa v0, v35, v0 dst_sel:DWORD dst_unused:UNUSED_PAD src0_sel:WORD_1 src1_sel:DWORD
	v_cmp_ne_u32_e64 s[0:1], v12, v1
	v_fma_f16 v0, v35, v16, -v0
	v_cndmask_b32_e64 v1, 0, 1, s[0:1]
	v_add_u32_e32 v10, 0xfffffc10, v10
	v_cvt_f32_f16_e32 v0, v0
	v_or_b32_e32 v1, v14, v1
	v_lshl_or_b32 v12, v10, 12, v7
	v_cmp_gt_i32_e64 s[0:1], 1, v10
	v_cndmask_b32_e64 v1, v12, v1, s[0:1]
	v_and_b32_e32 v12, 7, v1
	v_cmp_lt_i32_e64 s[0:1], 5, v12
	v_cmp_eq_u32_e64 s[2:3], 3, v12
	v_lshrrev_b32_e32 v12, 2, v1
	v_cvt_f64_f32_e32 v[0:1], v0
	s_or_b64 s[0:1], s[2:3], s[0:1]
	v_addc_co_u32_e64 v12, s[0:1], 0, v12, s[0:1]
	v_mul_f64 v[0:1], v[0:1], s[12:13]
	v_cmp_gt_i32_e64 s[0:1], 31, v10
	v_cndmask_b32_e64 v12, v2, v12, s[0:1]
	v_cmp_ne_u32_e64 s[0:1], 0, v7
	v_cndmask_b32_e64 v7, 0, 1, s[0:1]
	v_lshl_or_b32 v7, v7, 9, v2
	v_cmp_eq_u32_e64 s[0:1], s14, v10
	v_cndmask_b32_e64 v7, v12, v7, s[0:1]
	v_and_or_b32 v0, v1, s10, v0
	v_lshrrev_b32_e32 v10, 16, v13
	v_cmp_ne_u32_e64 s[0:1], 0, v0
	v_and_or_b32 v7, v10, s15, v7
	v_cndmask_b32_e64 v0, 0, 1, s[0:1]
	v_lshrrev_b32_e32 v10, 8, v1
	v_bfe_u32 v12, v1, 20, 11
	v_and_or_b32 v0, v10, s11, v0
	v_sub_u32_e32 v13, 0x3f1, v12
	v_or_b32_e32 v10, 0x1000, v0
	v_med3_i32 v13, v13, 0, 13
	v_lshrrev_b32_e32 v14, v13, v10
	v_lshlrev_b32_e32 v13, v13, v14
	v_cmp_ne_u32_e64 s[0:1], v13, v10
	v_cndmask_b32_e64 v10, 0, 1, s[0:1]
	v_or_b32_e32 v10, v14, v10
	v_add_u32_e32 v14, 0xfffffc10, v12
	v_lshl_or_b32 v12, v14, 12, v0
	v_cmp_gt_i32_e64 s[0:1], 1, v14
	v_cndmask_b32_e64 v10, v12, v10, s[0:1]
	v_and_b32_e32 v12, 7, v10
	v_lshrrev_b32_e32 v15, 16, v11
	v_cmp_lt_i32_e64 s[0:1], 5, v12
	v_cmp_eq_u32_e64 s[2:3], 3, v12
	v_mul_f16_sdwa v12, v34, v15 dst_sel:DWORD dst_unused:UNUSED_PAD src0_sel:WORD_1 src1_sel:DWORD
	v_fma_f16 v12, v34, v11, v12
	v_cvt_f32_f16_e32 v12, v12
	v_lshrrev_b32_e32 v10, 2, v10
	s_or_b64 s[0:1], s[2:3], s[0:1]
	v_addc_co_u32_e64 v10, s[0:1], 0, v10, s[0:1]
	v_cmp_gt_i32_e64 s[0:1], 31, v14
	v_cndmask_b32_e64 v10, v2, v10, s[0:1]
	v_cmp_ne_u32_e64 s[0:1], 0, v0
	v_cvt_f64_f32_e32 v[12:13], v12
	v_cndmask_b32_e64 v0, 0, 1, s[0:1]
	v_lshl_or_b32 v0, v0, 9, v2
	v_cmp_eq_u32_e64 s[0:1], s14, v14
	v_cndmask_b32_e64 v0, v10, v0, s[0:1]
	v_lshrrev_b32_e32 v1, 16, v1
	v_and_or_b32 v10, v1, s15, v0
	v_mul_f64 v[0:1], v[12:13], s[12:13]
	v_add_co_u32_e64 v5, s[0:1], s4, v5
	v_and_b32_e32 v7, 0xffff, v7
	v_addc_co_u32_e64 v6, s[0:1], v6, v19, s[0:1]
	v_lshl_or_b32 v7, v10, 16, v7
	global_store_dword v[5:6], v7, off
	v_and_or_b32 v0, v1, s10, v0
	v_cmp_ne_u32_e64 s[0:1], 0, v0
	v_cndmask_b32_e64 v0, 0, 1, s[0:1]
	v_lshrrev_b32_e32 v7, 8, v1
	v_bfe_u32 v10, v1, 20, 11
	v_and_or_b32 v0, v7, s11, v0
	v_sub_u32_e32 v12, 0x3f1, v10
	v_or_b32_e32 v7, 0x1000, v0
	v_med3_i32 v12, v12, 0, 13
	v_lshrrev_b32_e32 v13, v12, v7
	v_lshlrev_b32_e32 v12, v12, v13
	v_mul_f16_sdwa v11, v34, v11 dst_sel:DWORD dst_unused:UNUSED_PAD src0_sel:WORD_1 src1_sel:DWORD
	v_cmp_ne_u32_e64 s[0:1], v12, v7
	v_fma_f16 v11, v34, v15, -v11
	v_cndmask_b32_e64 v7, 0, 1, s[0:1]
	v_add_u32_e32 v12, 0xfffffc10, v10
	v_cvt_f32_f16_e32 v11, v11
	v_or_b32_e32 v7, v13, v7
	v_lshl_or_b32 v10, v12, 12, v0
	v_cmp_gt_i32_e64 s[0:1], 1, v12
	v_cndmask_b32_e64 v7, v10, v7, s[0:1]
	v_and_b32_e32 v10, 7, v7
	v_cmp_lt_i32_e64 s[0:1], 5, v10
	v_cmp_eq_u32_e64 s[2:3], 3, v10
	v_cvt_f64_f32_e32 v[10:11], v11
	v_lshrrev_b32_e32 v7, 2, v7
	s_or_b64 s[0:1], s[2:3], s[0:1]
	v_addc_co_u32_e64 v7, s[0:1], 0, v7, s[0:1]
	v_mul_f64 v[10:11], v[10:11], s[12:13]
	v_cmp_gt_i32_e64 s[0:1], 31, v12
	v_cndmask_b32_e64 v7, v2, v7, s[0:1]
	v_cmp_ne_u32_e64 s[0:1], 0, v0
	v_cndmask_b32_e64 v0, 0, 1, s[0:1]
	v_lshl_or_b32 v0, v0, 9, v2
	v_cmp_eq_u32_e64 s[0:1], s14, v12
	v_cndmask_b32_e64 v0, v7, v0, s[0:1]
	v_lshrrev_b32_e32 v1, 16, v1
	v_and_or_b32 v7, v1, s15, v0
	v_and_or_b32 v0, v11, s10, v10
	v_cmp_ne_u32_e64 s[0:1], 0, v0
	v_cndmask_b32_e64 v0, 0, 1, s[0:1]
	v_lshrrev_b32_e32 v1, 8, v11
	v_bfe_u32 v10, v11, 20, 11
	v_and_or_b32 v0, v1, s11, v0
	v_sub_u32_e32 v12, 0x3f1, v10
	v_or_b32_e32 v1, 0x1000, v0
	v_med3_i32 v12, v12, 0, 13
	v_lshrrev_b32_e32 v13, v12, v1
	v_lshlrev_b32_e32 v12, v12, v13
	v_cmp_ne_u32_e64 s[0:1], v12, v1
	v_cndmask_b32_e64 v1, 0, 1, s[0:1]
	v_add_u32_e32 v10, 0xfffffc10, v10
	v_or_b32_e32 v1, v13, v1
	v_lshl_or_b32 v12, v10, 12, v0
	v_cmp_gt_i32_e64 s[0:1], 1, v10
	v_cndmask_b32_e64 v1, v12, v1, s[0:1]
	v_and_b32_e32 v12, 7, v1
	v_cmp_lt_i32_e64 s[0:1], 5, v12
	v_cmp_eq_u32_e64 s[2:3], 3, v12
	ds_read_b32 v14, v31 offset:312
	v_lshrrev_b32_e32 v1, 2, v1
	s_or_b64 s[0:1], s[2:3], s[0:1]
	v_addc_co_u32_e64 v1, s[0:1], 0, v1, s[0:1]
	v_cmp_gt_i32_e64 s[0:1], 31, v10
	v_cndmask_b32_e64 v12, v2, v1, s[0:1]
	v_cmp_ne_u32_e64 s[0:1], 0, v0
	v_cndmask_b32_e64 v13, 0, 1, s[0:1]
	v_mad_u64_u32 v[0:1], s[0:1], s8, v33, 0
	s_waitcnt lgkmcnt(0)
	v_lshrrev_b32_e32 v16, 16, v14
	v_cmp_eq_u32_e64 s[0:1], s14, v10
	v_mul_f16_sdwa v10, v32, v16 dst_sel:DWORD dst_unused:UNUSED_PAD src0_sel:WORD_1 src1_sel:DWORD
	v_fma_f16 v10, v32, v14, v10
	v_cvt_f32_f16_e32 v10, v10
	v_lshl_or_b32 v13, v13, 9, v2
	v_cndmask_b32_e64 v15, v12, v13, s[0:1]
	v_mad_u64_u32 v[12:13], s[0:1], s9, v33, v[1:2]
	v_lshrrev_b32_e32 v1, 16, v11
	v_cvt_f64_f32_e32 v[10:11], v10
	v_and_or_b32 v13, v1, s15, v15
	v_mov_b32_e32 v1, v12
	v_lshlrev_b64 v[0:1], 2, v[0:1]
	v_mul_f64 v[10:11], v[10:11], s[12:13]
	v_and_b32_e32 v7, 0xffff, v7
	v_add_co_u32_e64 v0, s[0:1], v3, v0
	v_lshl_or_b32 v7, v13, 16, v7
	v_addc_co_u32_e64 v1, s[0:1], v4, v1, s[0:1]
	global_store_dword v[0:1], v7, off
	v_and_or_b32 v0, v11, s10, v10
	v_cmp_ne_u32_e64 s[0:1], 0, v0
	v_cndmask_b32_e64 v0, 0, 1, s[0:1]
	v_lshrrev_b32_e32 v1, 8, v11
	v_and_or_b32 v3, v1, s11, v0
	v_bfe_u32 v1, v11, 20, 11
	v_sub_u32_e32 v4, 0x3f1, v1
	v_or_b32_e32 v0, 0x1000, v3
	v_med3_i32 v4, v4, 0, 13
	v_lshrrev_b32_e32 v7, v4, v0
	v_lshlrev_b32_e32 v4, v4, v7
	v_cmp_ne_u32_e64 s[0:1], v4, v0
	v_cndmask_b32_e64 v0, 0, 1, s[0:1]
	v_or_b32_e32 v0, v7, v0
	v_mul_f16_sdwa v7, v32, v14 dst_sel:DWORD dst_unused:UNUSED_PAD src0_sel:WORD_1 src1_sel:DWORD
	v_fma_f16 v7, v32, v16, -v7
	v_add_u32_e32 v4, 0xfffffc10, v1
	v_cvt_f32_f16_e32 v7, v7
	v_lshl_or_b32 v1, v4, 12, v3
	v_cmp_gt_i32_e64 s[0:1], 1, v4
	v_cndmask_b32_e64 v0, v1, v0, s[0:1]
	v_and_b32_e32 v1, 7, v0
	v_cmp_lt_i32_e64 s[0:1], 5, v1
	v_cmp_eq_u32_e64 s[2:3], 3, v1
	v_lshrrev_b32_e32 v10, 2, v0
	v_cvt_f64_f32_e32 v[0:1], v7
	s_or_b64 s[0:1], s[2:3], s[0:1]
	v_addc_co_u32_e64 v7, s[0:1], 0, v10, s[0:1]
	v_mul_f64 v[0:1], v[0:1], s[12:13]
	v_cmp_gt_i32_e64 s[0:1], 31, v4
	v_cndmask_b32_e64 v7, v2, v7, s[0:1]
	v_cmp_ne_u32_e64 s[0:1], 0, v3
	v_cndmask_b32_e64 v3, 0, 1, s[0:1]
	v_lshl_or_b32 v3, v3, 9, v2
	v_cmp_eq_u32_e64 s[0:1], s14, v4
	v_cndmask_b32_e64 v3, v7, v3, s[0:1]
	v_and_or_b32 v0, v1, s10, v0
	v_lshrrev_b32_e32 v4, 16, v11
	v_cmp_ne_u32_e64 s[0:1], 0, v0
	v_and_or_b32 v3, v4, s15, v3
	v_cndmask_b32_e64 v0, 0, 1, s[0:1]
	v_lshrrev_b32_e32 v4, 8, v1
	v_bfe_u32 v7, v1, 20, 11
	v_and_or_b32 v0, v4, s11, v0
	v_sub_u32_e32 v10, 0x3f1, v7
	v_or_b32_e32 v4, 0x1000, v0
	v_med3_i32 v10, v10, 0, 13
	v_lshrrev_b32_e32 v11, v10, v4
	v_lshlrev_b32_e32 v10, v10, v11
	v_cmp_ne_u32_e64 s[0:1], v10, v4
	v_cndmask_b32_e64 v4, 0, 1, s[0:1]
	v_add_u32_e32 v7, 0xfffffc10, v7
	v_or_b32_e32 v4, v11, v4
	v_lshl_or_b32 v10, v7, 12, v0
	v_cmp_gt_i32_e64 s[0:1], 1, v7
	v_cndmask_b32_e64 v4, v10, v4, s[0:1]
	v_and_b32_e32 v10, 7, v4
	v_cmp_lt_i32_e64 s[0:1], 5, v10
	v_cmp_eq_u32_e64 s[2:3], 3, v10
	v_lshrrev_b32_e32 v4, 2, v4
	s_or_b64 s[0:1], s[2:3], s[0:1]
	v_addc_co_u32_e64 v4, s[0:1], 0, v4, s[0:1]
	v_cmp_gt_i32_e64 s[0:1], 31, v7
	v_cndmask_b32_e64 v4, v2, v4, s[0:1]
	v_cmp_ne_u32_e64 s[0:1], 0, v0
	v_cndmask_b32_e64 v0, 0, 1, s[0:1]
	v_lshl_or_b32 v0, v0, 9, v2
	v_cmp_eq_u32_e64 s[0:1], s14, v7
	v_cndmask_b32_e64 v0, v4, v0, s[0:1]
	v_lshrrev_b32_e32 v1, 16, v1
	v_and_or_b32 v4, v1, s15, v0
	v_mov_b32_e32 v0, 0xf0
	v_mad_u64_u32 v[0:1], s[0:1], s8, v0, v[5:6]
	v_and_b32_e32 v3, 0xffff, v3
	s_mul_i32 s0, s9, 0xf0
	v_lshl_or_b32 v3, v4, 16, v3
	v_add_u32_e32 v1, s0, v1
	global_store_dword v[0:1], v3, off
	s_and_b64 exec, exec, vcc
	s_cbranch_execz .LBB0_23
; %bb.22:
	global_load_dword v5, v[8:9], off offset:108
	global_load_dword v11, v[8:9], off offset:228
	ds_read2_b32 v[3:4], v31 offset0:27 offset1:57
	global_load_dword v12, v[8:9], off offset:348
	v_mov_b32_e32 v14, s5
	v_add_co_u32_e32 v0, vcc, s4, v0
	s_waitcnt lgkmcnt(0)
	v_lshrrev_b32_e32 v6, 16, v3
	v_lshrrev_b32_e32 v13, 16, v4
	v_addc_co_u32_e32 v1, vcc, v1, v14, vcc
	s_waitcnt vmcnt(2)
	v_mul_f16_sdwa v7, v6, v5 dst_sel:DWORD dst_unused:UNUSED_PAD src0_sel:DWORD src1_sel:WORD_1
	v_mul_f16_sdwa v8, v3, v5 dst_sel:DWORD dst_unused:UNUSED_PAD src0_sel:DWORD src1_sel:WORD_1
	v_fma_f16 v3, v3, v5, v7
	v_cvt_f32_f16_e32 v3, v3
	s_waitcnt vmcnt(1)
	v_mul_f16_sdwa v9, v13, v11 dst_sel:DWORD dst_unused:UNUSED_PAD src0_sel:DWORD src1_sel:WORD_1
	v_fma_f16 v5, v5, v6, -v8
	v_cvt_f32_f16_e32 v7, v5
	v_fma_f16 v8, v4, v11, v9
	v_cvt_f64_f32_e32 v[5:6], v3
	v_cvt_f32_f16_e32 v3, v8
	v_cvt_f64_f32_e32 v[7:8], v7
	v_mul_f64 v[5:6], v[5:6], s[12:13]
	v_cvt_f64_f32_e32 v[9:10], v3
	v_mul_f64 v[7:8], v[7:8], s[12:13]
	v_mul_f64 v[9:10], v[9:10], s[12:13]
	v_and_or_b32 v3, v6, s10, v5
	v_cmp_ne_u32_e32 vcc, 0, v3
	v_and_or_b32 v7, v8, s10, v7
	v_lshrrev_b32_e32 v5, 8, v6
	v_bfe_u32 v14, v6, 20, 11
	v_and_or_b32 v9, v10, s10, v9
	v_cndmask_b32_e64 v3, 0, 1, vcc
	v_cmp_ne_u32_e32 vcc, 0, v7
	v_lshrrev_b32_e32 v15, 8, v8
	v_bfe_u32 v16, v8, 20, 11
	v_bfe_u32 v18, v10, 20, 11
	v_sub_u32_e32 v19, 0x3f1, v14
	v_cndmask_b32_e64 v7, 0, 1, vcc
	v_cmp_ne_u32_e32 vcc, 0, v9
	v_and_or_b32 v3, v5, s11, v3
	v_lshrrev_b32_e32 v17, 8, v10
	v_sub_u32_e32 v20, 0x3f1, v16
	v_cndmask_b32_e64 v9, 0, 1, vcc
	v_sub_u32_e32 v21, 0x3f1, v18
	v_med3_i32 v5, v19, 0, 13
	v_and_or_b32 v7, v15, s11, v7
	v_or_b32_e32 v19, 0x1000, v3
	v_add_u32_e32 v14, 0xfffffc10, v14
	v_med3_i32 v15, v20, 0, 13
	v_and_or_b32 v9, v17, s11, v9
	v_med3_i32 v17, v21, 0, 13
	v_cmp_ne_u32_e32 vcc, 0, v3
	v_or_b32_e32 v21, 0x1000, v7
	v_lshrrev_b32_e32 v25, v5, v19
	v_add_u32_e32 v16, 0xfffffc10, v16
	v_lshl_or_b32 v20, v14, 12, v3
	v_cndmask_b32_e64 v3, 0, 1, vcc
	v_cmp_ne_u32_e32 vcc, 0, v7
	v_or_b32_e32 v23, 0x1000, v9
	v_lshrrev_b32_e32 v26, v15, v21
	v_lshlrev_b32_e32 v5, v5, v25
	v_lshl_or_b32 v22, v16, 12, v7
	v_cndmask_b32_e64 v7, 0, 1, vcc
	v_lshrrev_b32_e32 v27, v17, v23
	v_lshlrev_b32_e32 v15, v15, v26
	v_cmp_ne_u32_e32 vcc, v5, v19
	v_lshlrev_b32_e32 v17, v17, v27
	v_cndmask_b32_e64 v5, 0, 1, vcc
	v_cmp_ne_u32_e32 vcc, v15, v21
	v_cndmask_b32_e64 v15, 0, 1, vcc
	v_cmp_ne_u32_e32 vcc, v17, v23
	v_cndmask_b32_e64 v17, 0, 1, vcc
	v_or_b32_e32 v5, v25, v5
	v_cmp_gt_i32_e32 vcc, 1, v14
	v_add_u32_e32 v18, 0xfffffc10, v18
	v_or_b32_e32 v15, v26, v15
	v_cndmask_b32_e32 v5, v20, v5, vcc
	v_cmp_gt_i32_e32 vcc, 1, v16
	v_lshl_or_b32 v24, v18, 12, v9
	v_or_b32_e32 v17, v27, v17
	v_cndmask_b32_e32 v15, v22, v15, vcc
	v_cmp_gt_i32_e32 vcc, 1, v18
	v_and_b32_e32 v19, 7, v5
	v_cndmask_b32_e32 v17, v24, v17, vcc
	v_cmp_lt_i32_e32 vcc, 5, v19
	v_cmp_eq_u32_e64 s[0:1], 3, v19
	v_lshrrev_b32_e32 v5, 2, v5
	v_and_b32_e32 v20, 7, v15
	s_or_b64 vcc, s[0:1], vcc
	v_cmp_lt_i32_e64 s[2:3], 5, v20
	v_cmp_eq_u32_e64 s[4:5], 3, v20
	v_addc_co_u32_e32 v5, vcc, 0, v5, vcc
	v_lshrrev_b32_e32 v15, 2, v15
	s_or_b64 vcc, s[4:5], s[2:3]
	v_addc_co_u32_e32 v15, vcc, 0, v15, vcc
	v_cmp_gt_i32_e32 vcc, 31, v14
	v_cndmask_b32_e32 v5, v2, v5, vcc
	v_cmp_gt_i32_e32 vcc, 31, v16
	v_lshl_or_b32 v3, v3, 9, v2
	v_cndmask_b32_e32 v15, v2, v15, vcc
	v_cmp_eq_u32_e32 vcc, s14, v14
	v_lshrrev_b32_e32 v6, 16, v6
	v_lshl_or_b32 v7, v7, 9, v2
	v_cndmask_b32_e32 v3, v5, v3, vcc
	v_cmp_eq_u32_e32 vcc, s14, v16
	v_lshrrev_b32_e32 v8, 16, v8
	v_cndmask_b32_e32 v5, v15, v7, vcc
	v_and_or_b32 v3, v6, s15, v3
	v_and_or_b32 v5, v8, s15, v5
	v_and_b32_e32 v3, 0xffff, v3
	v_lshl_or_b32 v3, v5, 16, v3
	global_store_dword v[0:1], v3, off
	v_mul_f16_sdwa v3, v4, v11 dst_sel:DWORD dst_unused:UNUSED_PAD src0_sel:DWORD src1_sel:WORD_1
	v_fma_f16 v3, v11, v13, -v3
	v_cvt_f32_f16_e32 v3, v3
	v_and_b32_e32 v21, 7, v17
	v_cmp_lt_i32_e32 vcc, 5, v21
	v_cmp_eq_u32_e64 s[0:1], 3, v21
	v_cvt_f64_f32_e32 v[3:4], v3
	v_lshrrev_b32_e32 v5, 2, v17
	s_or_b64 vcc, s[0:1], vcc
	v_addc_co_u32_e32 v5, vcc, 0, v5, vcc
	v_mul_f64 v[3:4], v[3:4], s[12:13]
	v_cmp_gt_i32_e32 vcc, 31, v18
	v_cndmask_b32_e32 v5, v2, v5, vcc
	v_cmp_ne_u32_e32 vcc, 0, v9
	v_cndmask_b32_e64 v6, 0, 1, vcc
	v_lshl_or_b32 v6, v6, 9, v2
	v_cmp_eq_u32_e32 vcc, s14, v18
	v_cndmask_b32_e32 v5, v5, v6, vcc
	v_and_or_b32 v3, v4, s10, v3
	v_lshrrev_b32_e32 v6, 16, v10
	v_cmp_ne_u32_e32 vcc, 0, v3
	v_and_or_b32 v7, v6, s15, v5
	v_cndmask_b32_e64 v3, 0, 1, vcc
	v_lshrrev_b32_e32 v5, 8, v4
	v_bfe_u32 v6, v4, 20, 11
	v_and_or_b32 v3, v5, s11, v3
	v_sub_u32_e32 v8, 0x3f1, v6
	v_or_b32_e32 v5, 0x1000, v3
	v_med3_i32 v8, v8, 0, 13
	v_lshrrev_b32_e32 v9, v8, v5
	v_lshlrev_b32_e32 v8, v8, v9
	v_cmp_ne_u32_e32 vcc, v8, v5
	v_cndmask_b32_e64 v5, 0, 1, vcc
	v_add_u32_e32 v6, 0xfffffc10, v6
	v_or_b32_e32 v5, v9, v5
	v_lshl_or_b32 v8, v6, 12, v3
	v_cmp_gt_i32_e32 vcc, 1, v6
	v_cndmask_b32_e32 v5, v8, v5, vcc
	v_and_b32_e32 v8, 7, v5
	v_cmp_lt_i32_e32 vcc, 5, v8
	v_cmp_eq_u32_e64 s[0:1], 3, v8
	ds_read_b32 v8, v31 offset:348
	v_lshrrev_b32_e32 v5, 2, v5
	s_or_b64 vcc, s[0:1], vcc
	v_addc_co_u32_e32 v5, vcc, 0, v5, vcc
	s_waitcnt lgkmcnt(0)
	v_lshrrev_b32_e32 v9, 16, v8
	s_waitcnt vmcnt(1)
	v_mul_f16_sdwa v10, v9, v12 dst_sel:DWORD dst_unused:UNUSED_PAD src0_sel:DWORD src1_sel:WORD_1
	v_fma_f16 v10, v8, v12, v10
	v_cmp_gt_i32_e32 vcc, 31, v6
	v_cvt_f32_f16_e32 v10, v10
	v_cndmask_b32_e32 v5, v2, v5, vcc
	v_cmp_ne_u32_e32 vcc, 0, v3
	v_cndmask_b32_e64 v3, 0, 1, vcc
	v_lshl_or_b32 v3, v3, 9, v2
	v_cmp_eq_u32_e32 vcc, s14, v6
	v_cndmask_b32_e32 v3, v5, v3, vcc
	v_cvt_f64_f32_e32 v[5:6], v10
	v_lshrrev_b32_e32 v4, 16, v4
	v_and_or_b32 v10, v4, s15, v3
	v_and_b32_e32 v7, 0xffff, v7
	v_mul_f64 v[3:4], v[5:6], s[12:13]
	v_lshl_or_b32 v5, v10, 16, v7
	v_mov_b32_e32 v7, s7
	v_add_co_u32_e32 v0, vcc, s6, v0
	v_addc_co_u32_e32 v1, vcc, v1, v7, vcc
	global_store_dword v[0:1], v5, off
	v_and_or_b32 v3, v4, s10, v3
	v_cmp_ne_u32_e32 vcc, 0, v3
	v_cndmask_b32_e64 v3, 0, 1, vcc
	v_lshrrev_b32_e32 v5, 8, v4
	v_bfe_u32 v6, v4, 20, 11
	v_and_or_b32 v3, v5, s11, v3
	v_sub_u32_e32 v10, 0x3f1, v6
	v_or_b32_e32 v5, 0x1000, v3
	v_med3_i32 v10, v10, 0, 13
	v_lshrrev_b32_e32 v11, v10, v5
	v_lshlrev_b32_e32 v10, v10, v11
	v_mul_f16_sdwa v8, v8, v12 dst_sel:DWORD dst_unused:UNUSED_PAD src0_sel:DWORD src1_sel:WORD_1
	v_cmp_ne_u32_e32 vcc, v10, v5
	v_fma_f16 v8, v12, v9, -v8
	v_cndmask_b32_e64 v5, 0, 1, vcc
	v_add_u32_e32 v10, 0xfffffc10, v6
	v_cvt_f32_f16_e32 v8, v8
	v_or_b32_e32 v5, v11, v5
	v_lshl_or_b32 v6, v10, 12, v3
	v_cmp_gt_i32_e32 vcc, 1, v10
	v_cndmask_b32_e32 v5, v6, v5, vcc
	v_and_b32_e32 v6, 7, v5
	v_cmp_lt_i32_e32 vcc, 5, v6
	v_cmp_eq_u32_e64 s[0:1], 3, v6
	v_lshrrev_b32_e32 v9, 2, v5
	v_cvt_f64_f32_e32 v[5:6], v8
	s_or_b64 vcc, s[0:1], vcc
	v_addc_co_u32_e32 v8, vcc, 0, v9, vcc
	v_mul_f64 v[5:6], v[5:6], s[12:13]
	v_cmp_gt_i32_e32 vcc, 31, v10
	v_cndmask_b32_e32 v8, v2, v8, vcc
	v_cmp_ne_u32_e32 vcc, 0, v3
	v_cndmask_b32_e64 v3, 0, 1, vcc
	v_lshl_or_b32 v3, v3, 9, v2
	v_cmp_eq_u32_e32 vcc, s14, v10
	v_cndmask_b32_e32 v3, v8, v3, vcc
	v_lshrrev_b32_e32 v4, 16, v4
	v_and_or_b32 v3, v4, s15, v3
	v_and_or_b32 v4, v6, s10, v5
	v_cmp_ne_u32_e32 vcc, 0, v4
	v_cndmask_b32_e64 v4, 0, 1, vcc
	v_lshrrev_b32_e32 v5, 8, v6
	v_bfe_u32 v8, v6, 20, 11
	v_and_or_b32 v4, v5, s11, v4
	v_sub_u32_e32 v9, 0x3f1, v8
	v_or_b32_e32 v5, 0x1000, v4
	v_med3_i32 v9, v9, 0, 13
	v_lshrrev_b32_e32 v10, v9, v5
	v_lshlrev_b32_e32 v9, v9, v10
	v_cmp_ne_u32_e32 vcc, v9, v5
	v_cndmask_b32_e64 v5, 0, 1, vcc
	v_add_u32_e32 v8, 0xfffffc10, v8
	v_or_b32_e32 v5, v10, v5
	v_lshl_or_b32 v9, v8, 12, v4
	v_cmp_gt_i32_e32 vcc, 1, v8
	v_cndmask_b32_e32 v5, v9, v5, vcc
	v_and_b32_e32 v9, 7, v5
	v_cmp_lt_i32_e32 vcc, 5, v9
	v_cmp_eq_u32_e64 s[0:1], 3, v9
	v_lshrrev_b32_e32 v5, 2, v5
	s_or_b64 vcc, s[0:1], vcc
	v_addc_co_u32_e32 v5, vcc, 0, v5, vcc
	v_cmp_gt_i32_e32 vcc, 31, v8
	v_cndmask_b32_e32 v5, v2, v5, vcc
	v_cmp_ne_u32_e32 vcc, 0, v4
	v_cndmask_b32_e64 v4, 0, 1, vcc
	v_lshl_or_b32 v2, v4, 9, v2
	v_cmp_eq_u32_e32 vcc, s14, v8
	v_cndmask_b32_e32 v2, v5, v2, vcc
	v_lshrrev_b32_e32 v4, 16, v6
	v_and_or_b32 v2, v4, s15, v2
	v_and_b32_e32 v3, 0xffff, v3
	v_add_co_u32_e32 v0, vcc, s6, v0
	v_lshl_or_b32 v2, v2, 16, v3
	v_addc_co_u32_e32 v1, vcc, v1, v7, vcc
	global_store_dword v[0:1], v2, off
.LBB0_23:
	s_endpgm
	.section	.rodata,"a",@progbits
	.p2align	6, 0x0
	.amdhsa_kernel bluestein_single_fwd_len90_dim1_half_op_CI_CI
		.amdhsa_group_segment_fixed_size 2520
		.amdhsa_private_segment_fixed_size 0
		.amdhsa_kernarg_size 104
		.amdhsa_user_sgpr_count 6
		.amdhsa_user_sgpr_private_segment_buffer 1
		.amdhsa_user_sgpr_dispatch_ptr 0
		.amdhsa_user_sgpr_queue_ptr 0
		.amdhsa_user_sgpr_kernarg_segment_ptr 1
		.amdhsa_user_sgpr_dispatch_id 0
		.amdhsa_user_sgpr_flat_scratch_init 0
		.amdhsa_user_sgpr_private_segment_size 0
		.amdhsa_uses_dynamic_stack 0
		.amdhsa_system_sgpr_private_segment_wavefront_offset 0
		.amdhsa_system_sgpr_workgroup_id_x 1
		.amdhsa_system_sgpr_workgroup_id_y 0
		.amdhsa_system_sgpr_workgroup_id_z 0
		.amdhsa_system_sgpr_workgroup_info 0
		.amdhsa_system_vgpr_workitem_id 0
		.amdhsa_next_free_vgpr 83
		.amdhsa_next_free_sgpr 16
		.amdhsa_reserve_vcc 1
		.amdhsa_reserve_flat_scratch 0
		.amdhsa_float_round_mode_32 0
		.amdhsa_float_round_mode_16_64 0
		.amdhsa_float_denorm_mode_32 3
		.amdhsa_float_denorm_mode_16_64 3
		.amdhsa_dx10_clamp 1
		.amdhsa_ieee_mode 1
		.amdhsa_fp16_overflow 0
		.amdhsa_exception_fp_ieee_invalid_op 0
		.amdhsa_exception_fp_denorm_src 0
		.amdhsa_exception_fp_ieee_div_zero 0
		.amdhsa_exception_fp_ieee_overflow 0
		.amdhsa_exception_fp_ieee_underflow 0
		.amdhsa_exception_fp_ieee_inexact 0
		.amdhsa_exception_int_div_zero 0
	.end_amdhsa_kernel
	.text
.Lfunc_end0:
	.size	bluestein_single_fwd_len90_dim1_half_op_CI_CI, .Lfunc_end0-bluestein_single_fwd_len90_dim1_half_op_CI_CI
                                        ; -- End function
	.section	.AMDGPU.csdata,"",@progbits
; Kernel info:
; codeLenInByte = 15392
; NumSgprs: 20
; NumVgprs: 83
; ScratchSize: 0
; MemoryBound: 0
; FloatMode: 240
; IeeeMode: 1
; LDSByteSize: 2520 bytes/workgroup (compile time only)
; SGPRBlocks: 2
; VGPRBlocks: 20
; NumSGPRsForWavesPerEU: 20
; NumVGPRsForWavesPerEU: 83
; Occupancy: 3
; WaveLimiterHint : 1
; COMPUTE_PGM_RSRC2:SCRATCH_EN: 0
; COMPUTE_PGM_RSRC2:USER_SGPR: 6
; COMPUTE_PGM_RSRC2:TRAP_HANDLER: 0
; COMPUTE_PGM_RSRC2:TGID_X_EN: 1
; COMPUTE_PGM_RSRC2:TGID_Y_EN: 0
; COMPUTE_PGM_RSRC2:TGID_Z_EN: 0
; COMPUTE_PGM_RSRC2:TIDIG_COMP_CNT: 0
	.type	__hip_cuid_176a3e9963f39ba2,@object ; @__hip_cuid_176a3e9963f39ba2
	.section	.bss,"aw",@nobits
	.globl	__hip_cuid_176a3e9963f39ba2
__hip_cuid_176a3e9963f39ba2:
	.byte	0                               ; 0x0
	.size	__hip_cuid_176a3e9963f39ba2, 1

	.ident	"AMD clang version 19.0.0git (https://github.com/RadeonOpenCompute/llvm-project roc-6.4.0 25133 c7fe45cf4b819c5991fe208aaa96edf142730f1d)"
	.section	".note.GNU-stack","",@progbits
	.addrsig
	.addrsig_sym __hip_cuid_176a3e9963f39ba2
	.amdgpu_metadata
---
amdhsa.kernels:
  - .args:
      - .actual_access:  read_only
        .address_space:  global
        .offset:         0
        .size:           8
        .value_kind:     global_buffer
      - .actual_access:  read_only
        .address_space:  global
        .offset:         8
        .size:           8
        .value_kind:     global_buffer
      - .actual_access:  read_only
        .address_space:  global
        .offset:         16
        .size:           8
        .value_kind:     global_buffer
      - .actual_access:  read_only
        .address_space:  global
        .offset:         24
        .size:           8
        .value_kind:     global_buffer
      - .actual_access:  read_only
        .address_space:  global
        .offset:         32
        .size:           8
        .value_kind:     global_buffer
      - .offset:         40
        .size:           8
        .value_kind:     by_value
      - .address_space:  global
        .offset:         48
        .size:           8
        .value_kind:     global_buffer
      - .address_space:  global
        .offset:         56
        .size:           8
        .value_kind:     global_buffer
      - .address_space:  global
        .offset:         64
        .size:           8
        .value_kind:     global_buffer
      - .address_space:  global
        .offset:         72
        .size:           8
        .value_kind:     global_buffer
      - .offset:         80
        .size:           4
        .value_kind:     by_value
      - .address_space:  global
        .offset:         88
        .size:           8
        .value_kind:     global_buffer
      - .address_space:  global
        .offset:         96
        .size:           8
        .value_kind:     global_buffer
    .group_segment_fixed_size: 2520
    .kernarg_segment_align: 8
    .kernarg_segment_size: 104
    .language:       OpenCL C
    .language_version:
      - 2
      - 0
    .max_flat_workgroup_size: 63
    .name:           bluestein_single_fwd_len90_dim1_half_op_CI_CI
    .private_segment_fixed_size: 0
    .sgpr_count:     20
    .sgpr_spill_count: 0
    .symbol:         bluestein_single_fwd_len90_dim1_half_op_CI_CI.kd
    .uniform_work_group_size: 1
    .uses_dynamic_stack: false
    .vgpr_count:     83
    .vgpr_spill_count: 0
    .wavefront_size: 64
amdhsa.target:   amdgcn-amd-amdhsa--gfx906
amdhsa.version:
  - 1
  - 2
...

	.end_amdgpu_metadata
